;; amdgpu-corpus repo=ROCm/rocFFT kind=compiled arch=gfx1201 opt=O3
	.text
	.amdgcn_target "amdgcn-amd-amdhsa--gfx1201"
	.amdhsa_code_object_version 6
	.protected	bluestein_single_fwd_len1445_dim1_half_op_CI_CI ; -- Begin function bluestein_single_fwd_len1445_dim1_half_op_CI_CI
	.globl	bluestein_single_fwd_len1445_dim1_half_op_CI_CI
	.p2align	8
	.type	bluestein_single_fwd_len1445_dim1_half_op_CI_CI,@function
bluestein_single_fwd_len1445_dim1_half_op_CI_CI: ; @bluestein_single_fwd_len1445_dim1_half_op_CI_CI
; %bb.0:
	s_load_b128 s[16:19], s[0:1], 0x28
	v_mul_u32_u24_e32 v1, 0x304, v0
	s_mov_b32 s2, exec_lo
	v_mov_b32_e32 v33, 0
	s_delay_alu instid0(VALU_DEP_2) | instskip(NEXT) | instid1(VALU_DEP_1)
	v_lshrrev_b32_e32 v1, 16, v1
	v_add_nc_u32_e32 v32, ttmp9, v1
	s_wait_kmcnt 0x0
	s_delay_alu instid0(VALU_DEP_1)
	v_cmpx_gt_u64_e64 s[16:17], v[32:33]
	s_cbranch_execz .LBB0_10
; %bb.1:
	s_clause 0x1
	s_load_b128 s[4:7], s[0:1], 0x18
	s_load_b128 s[8:11], s[0:1], 0x0
	v_mul_lo_u16 v1, 0x55, v1
	s_delay_alu instid0(VALU_DEP_1) | instskip(NEXT) | instid1(VALU_DEP_1)
	v_sub_nc_u16 v30, v0, v1
	v_and_b32_e32 v74, 0xffff, v30
	s_wait_kmcnt 0x0
	s_load_b128 s[12:15], s[4:5], 0x0
	s_wait_kmcnt 0x0
	v_mad_co_u64_u32 v[0:1], null, s14, v32, 0
	v_mad_co_u64_u32 v[2:3], null, s12, v74, 0
	s_mul_u64 s[2:3], s[12:13], 0x154
	s_delay_alu instid0(VALU_DEP_1) | instskip(NEXT) | instid1(VALU_DEP_1)
	v_mad_co_u64_u32 v[4:5], null, s15, v32, v[1:2]
	v_mov_b32_e32 v1, v4
	s_delay_alu instid0(VALU_DEP_3)
	v_mad_co_u64_u32 v[5:6], null, s13, v74, v[3:4]
	v_lshlrev_b32_e32 v47, 2, v74
	s_clause 0x7
	global_load_b32 v79, v47, s[8:9]
	global_load_b32 v78, v47, s[8:9] offset:340
	global_load_b32 v76, v47, s[8:9] offset:680
	;; [unrolled: 1-line block ×7, first 2 shown]
	v_dual_mov_b32 v3, v5 :: v_dual_add_nc_u32 v22, 0x400, v47
	v_lshlrev_b64_e32 v[0:1], 2, v[0:1]
	s_clause 0x7
	global_load_b32 v63, v47, s[8:9] offset:2720
	global_load_b32 v61, v47, s[8:9] offset:3060
	;; [unrolled: 1-line block ×8, first 2 shown]
	v_add_nc_u32_e32 v20, 0x800, v47
	v_lshlrev_b64_e32 v[2:3], 2, v[2:3]
	v_add_nc_u32_e32 v23, 0xe00, v47
	v_add_nc_u32_e32 v24, 0x1000, v47
	v_add_co_u32 v0, vcc_lo, s18, v0
	v_add_co_ci_u32_e32 v1, vcc_lo, s19, v1, vcc_lo
	s_delay_alu instid0(VALU_DEP_2) | instskip(SKIP_1) | instid1(VALU_DEP_2)
	v_add_co_u32 v0, vcc_lo, v0, v2
	s_wait_alu 0xfffd
	v_add_co_ci_u32_e32 v1, vcc_lo, v1, v3, vcc_lo
	s_delay_alu instid0(VALU_DEP_2) | instskip(SKIP_1) | instid1(VALU_DEP_2)
	v_add_co_u32 v2, vcc_lo, v0, s2
	s_wait_alu 0xfffd
	v_add_co_ci_u32_e32 v3, vcc_lo, s3, v1, vcc_lo
	global_load_b32 v4, v[0:1], off
	v_add_co_u32 v0, vcc_lo, v2, s2
	s_wait_alu 0xfffd
	v_add_co_ci_u32_e32 v1, vcc_lo, s3, v3, vcc_lo
	global_load_b32 v5, v[2:3], off
	global_load_b32 v48, v47, s[8:9] offset:5440
	global_load_b32 v6, v[0:1], off
	v_add_co_u32 v0, vcc_lo, v0, s2
	s_wait_alu 0xfffd
	v_add_co_ci_u32_e32 v1, vcc_lo, s3, v1, vcc_lo
	s_delay_alu instid0(VALU_DEP_2) | instskip(SKIP_1) | instid1(VALU_DEP_2)
	v_add_co_u32 v2, vcc_lo, v0, s2
	s_wait_alu 0xfffd
	v_add_co_ci_u32_e32 v3, vcc_lo, s3, v1, vcc_lo
	global_load_b32 v7, v[0:1], off
	v_add_co_u32 v0, vcc_lo, v2, s2
	s_wait_alu 0xfffd
	v_add_co_ci_u32_e32 v1, vcc_lo, s3, v3, vcc_lo
	global_load_b32 v8, v[2:3], off
	global_load_b32 v9, v[0:1], off
	v_add_co_u32 v0, vcc_lo, v0, s2
	s_wait_alu 0xfffd
	v_add_co_ci_u32_e32 v1, vcc_lo, s3, v1, vcc_lo
	s_delay_alu instid0(VALU_DEP_2) | instskip(SKIP_1) | instid1(VALU_DEP_2)
	v_add_co_u32 v2, vcc_lo, v0, s2
	s_wait_alu 0xfffd
	v_add_co_ci_u32_e32 v3, vcc_lo, s3, v1, vcc_lo
	global_load_b32 v10, v[0:1], off
	global_load_b32 v11, v[2:3], off
	v_add_co_u32 v0, vcc_lo, v2, s2
	s_wait_alu 0xfffd
	v_add_co_ci_u32_e32 v1, vcc_lo, s3, v3, vcc_lo
	s_delay_alu instid0(VALU_DEP_2) | instskip(SKIP_1) | instid1(VALU_DEP_2)
	v_add_co_u32 v2, vcc_lo, v0, s2
	s_wait_alu 0xfffd
	v_add_co_ci_u32_e32 v3, vcc_lo, s3, v1, vcc_lo
	global_load_b32 v12, v[0:1], off
	v_add_co_u32 v0, vcc_lo, v2, s2
	s_wait_alu 0xfffd
	v_add_co_ci_u32_e32 v1, vcc_lo, s3, v3, vcc_lo
	global_load_b32 v13, v[2:3], off
	global_load_b32 v14, v[0:1], off
	v_add_co_u32 v0, vcc_lo, v0, s2
	s_wait_alu 0xfffd
	v_add_co_ci_u32_e32 v1, vcc_lo, s3, v1, vcc_lo
	s_delay_alu instid0(VALU_DEP_2) | instskip(SKIP_1) | instid1(VALU_DEP_2)
	v_add_co_u32 v2, vcc_lo, v0, s2
	s_wait_alu 0xfffd
	v_add_co_ci_u32_e32 v3, vcc_lo, s3, v1, vcc_lo
	global_load_b32 v15, v[0:1], off
	v_add_co_u32 v0, vcc_lo, v2, s2
	s_wait_alu 0xfffd
	v_add_co_ci_u32_e32 v1, vcc_lo, s3, v3, vcc_lo
	global_load_b32 v16, v[2:3], off
	v_add_co_u32 v2, vcc_lo, v0, s2
	s_wait_alu 0xfffd
	v_add_co_ci_u32_e32 v3, vcc_lo, s3, v1, vcc_lo
	global_load_b32 v17, v[0:1], off
	v_add_co_u32 v0, vcc_lo, v2, s2
	s_wait_alu 0xfffd
	v_add_co_ci_u32_e32 v1, vcc_lo, s3, v3, vcc_lo
	global_load_b32 v18, v[2:3], off
	v_add_co_u32 v2, vcc_lo, v0, s2
	s_wait_alu 0xfffd
	v_add_co_ci_u32_e32 v3, vcc_lo, s3, v1, vcc_lo
	global_load_b32 v0, v[0:1], off
	global_load_b32 v1, v[2:3], off
	v_add_nc_u32_e32 v2, 0x600, v47
	v_add_nc_u32_e32 v3, 0xc00, v47
	s_load_b128 s[4:7], s[6:7], 0x0
	s_load_b64 s[2:3], s[0:1], 0x38
	v_cmp_gt_u16_e32 vcc_lo, 34, v30
	s_wait_loadcnt 0x21
	v_lshrrev_b32_e32 v82, 16, v79
	s_wait_loadcnt 0x20
	v_lshrrev_b32_e32 v81, 16, v78
	;; [unrolled: 2-line block ×17, first 2 shown]
	v_mul_f16_e32 v21, v82, v4
	s_wait_loadcnt 0x10
	v_lshrrev_b32_e32 v26, 16, v5
	s_delay_alu instid0(VALU_DEP_3)
	v_mul_f16_e32 v25, v82, v19
	v_mul_f16_e32 v27, v81, v5
	v_fma_f16 v19, v79, v19, -v21
	s_wait_loadcnt 0xe
	v_lshrrev_b32_e32 v21, 16, v6
	v_lshrrev_b32_e32 v29, 16, v48
	v_fmac_f16_e32 v25, v79, v4
	v_mul_f16_e32 v4, v81, v26
	v_fma_f16 v26, v78, v26, -v27
	v_mul_f16_e32 v27, v80, v6
	s_delay_alu instid0(VALU_DEP_4) | instskip(NEXT) | instid1(VALU_DEP_4)
	v_pack_b32_f16 v19, v25, v19
	v_fmac_f16_e32 v4, v78, v5
	v_mul_f16_e32 v5, v80, v21
	s_wait_loadcnt 0xd
	v_lshrrev_b32_e32 v25, 16, v7
	v_mul_f16_e32 v28, v44, v7
	v_fma_f16 v21, v76, v21, -v27
	v_pack_b32_f16 v4, v4, v26
	v_fmac_f16_e32 v5, v76, v6
	v_mul_f16_e32 v6, v44, v25
	s_wait_loadcnt 0xc
	v_lshrrev_b32_e32 v26, 16, v8
	v_fma_f16 v25, v73, v25, -v28
	v_mul_f16_e32 v27, v43, v8
	ds_store_2addr_b32 v47, v19, v4 offset1:85
	v_pack_b32_f16 v4, v5, v21
	v_fmac_f16_e32 v6, v73, v7
	v_mul_f16_e32 v5, v43, v26
	s_wait_loadcnt 0xb
	v_lshrrev_b32_e32 v7, 16, v9
	v_mul_f16_e32 v19, v42, v9
	v_fma_f16 v21, v71, v26, -v27
	v_pack_b32_f16 v6, v6, v25
	v_fmac_f16_e32 v5, v71, v8
	v_mul_f16_e32 v8, v42, v7
	v_fma_f16 v7, v69, v7, -v19
	s_wait_loadcnt 0xa
	v_lshrrev_b32_e32 v19, 16, v10
	v_mul_f16_e32 v25, v41, v10
	ds_store_2addr_b32 v47, v4, v6 offset0:170 offset1:255
	v_pack_b32_f16 v4, v5, v21
	v_fmac_f16_e32 v8, v69, v9
	v_mul_f16_e32 v5, v41, v19
	s_wait_loadcnt 0x9
	v_lshrrev_b32_e32 v6, 16, v11
	v_mul_f16_e32 v9, v40, v11
	v_fma_f16 v19, v67, v19, -v25
	v_pack_b32_f16 v7, v8, v7
	v_fmac_f16_e32 v5, v67, v10
	v_mul_f16_e32 v8, v40, v6
	v_fma_f16 v6, v65, v6, -v9
	s_wait_loadcnt 0x8
	v_lshrrev_b32_e32 v9, 16, v12
	v_mul_f16_e32 v10, v39, v12
	ds_store_2addr_b32 v22, v4, v7 offset0:84 offset1:169
	v_pack_b32_f16 v4, v5, v19
	v_fmac_f16_e32 v8, v65, v11
	v_mul_f16_e32 v5, v39, v9
	s_wait_loadcnt 0x7
	v_lshrrev_b32_e32 v7, 16, v13
	v_mul_f16_e32 v11, v38, v13
	v_fma_f16 v9, v63, v9, -v10
	v_pack_b32_f16 v6, v8, v6
	v_fmac_f16_e32 v5, v63, v12
	v_mul_f16_e32 v8, v38, v7
	s_wait_loadcnt 0x6
	v_lshrrev_b32_e32 v10, 16, v14
	v_fma_f16 v7, v61, v7, -v11
	v_mul_f16_e32 v11, v37, v14
	ds_store_2addr_b32 v2, v4, v6 offset0:126 offset1:211
	v_pack_b32_f16 v4, v5, v9
	v_fmac_f16_e32 v8, v61, v13
	v_mul_f16_e32 v5, v37, v10
	s_wait_loadcnt 0x5
	v_lshrrev_b32_e32 v6, 16, v15
	v_mul_f16_e32 v9, v36, v15
	v_fma_f16 v10, v59, v10, -v11
	v_pack_b32_f16 v7, v8, v7
	v_fmac_f16_e32 v5, v59, v14
	v_mul_f16_e32 v8, v36, v6
	v_fma_f16 v6, v58, v6, -v9
	s_wait_loadcnt 0x4
	v_lshrrev_b32_e32 v9, 16, v16
	v_mul_f16_e32 v11, v35, v16
	v_pack_b32_f16 v5, v5, v10
	v_fmac_f16_e32 v8, v58, v15
	s_wait_loadcnt 0x3
	v_lshrrev_b32_e32 v10, 16, v17
	v_mul_f16_e32 v12, v35, v9
	v_fma_f16 v9, v56, v9, -v11
	v_mul_f16_e32 v11, v34, v17
	v_pack_b32_f16 v6, v8, v6
	v_mul_f16_e32 v8, v34, v10
	s_wait_loadcnt 0x2
	v_lshrrev_b32_e32 v13, 16, v18
	s_wait_loadcnt 0x1
	v_lshrrev_b32_e32 v14, 16, v0
	v_fma_f16 v10, v54, v10, -v11
	v_mul_f16_e32 v11, v33, v18
	v_fmac_f16_e32 v12, v56, v16
	s_wait_loadcnt 0x0
	v_lshrrev_b32_e32 v16, 16, v1
	v_fmac_f16_e32 v8, v54, v17
	v_mul_f16_e32 v15, v33, v13
	v_fma_f16 v11, v52, v13, -v11
	v_mul_f16_e32 v13, v31, v0
	v_mul_f16_e32 v17, v31, v14
	;; [unrolled: 1-line block ×4, first 2 shown]
	v_fmac_f16_e32 v15, v52, v18
	v_fma_f16 v13, v49, v14, -v13
	v_fmac_f16_e32 v17, v49, v0
	v_fma_f16 v0, v48, v16, -v19
	v_fmac_f16_e32 v21, v48, v1
	v_pack_b32_f16 v1, v12, v9
	v_pack_b32_f16 v8, v8, v10
	;; [unrolled: 1-line block ×5, first 2 shown]
	ds_store_2addr_b32 v20, v4, v7 offset0:168 offset1:253
	ds_store_2addr_b32 v3, v5, v6 offset0:82 offset1:167
	ds_store_2addr_b32 v23, v1, v8 offset0:124 offset1:209
	ds_store_2addr_b32 v24, v9, v10 offset0:166 offset1:251
	ds_store_b32 v47, v0 offset:5440
	global_wb scope:SCOPE_SE
	s_wait_dscnt 0x0
	s_wait_kmcnt 0x0
	s_barrier_signal -1
	s_barrier_wait -1
	global_inv scope:SCOPE_SE
	ds_load_2addr_b32 v[0:1], v47 offset1:85
	ds_load_b32 v35, v47 offset:5440
	ds_load_2addr_b32 v[4:5], v24 offset0:166 offset1:251
	ds_load_2addr_b32 v[14:15], v47 offset0:170 offset1:255
	;; [unrolled: 1-line block ×7, first 2 shown]
	global_wb scope:SCOPE_SE
	s_wait_dscnt 0x0
	s_barrier_signal -1
	s_barrier_wait -1
	global_inv scope:SCOPE_SE
	v_pk_add_f16 v37, v0, v1
	v_pk_add_f16 v16, v35, v1
	v_pk_add_f16 v1, v1, v35 neg_lo:[0,1] neg_hi:[0,1]
	v_pk_add_f16 v18, v5, v14
	v_pk_add_f16 v17, v14, v5 neg_lo:[0,1] neg_hi:[0,1]
	v_pk_add_f16 v14, v37, v14
	v_pk_add_f16 v26, v7, v12
	v_pk_add_f16 v25, v12, v7 neg_lo:[0,1] neg_hi:[0,1]
	v_pk_add_f16 v31, v9, v10
	v_pk_add_f16 v29, v10, v9 neg_lo:[0,1] neg_hi:[0,1]
	v_pk_add_f16 v114, v14, v15
	v_pk_add_f16 v21, v4, v15
	v_pk_add_f16 v19, v15, v4 neg_lo:[0,1] neg_hi:[0,1]
	v_lshrrev_b32_e32 v37, 16, v16
	v_mul_f16_e32 v38, 0xb964, v1
	v_pk_add_f16 v12, v114, v12
	v_mul_f16_e32 v39, 0xbb29, v1
	v_mul_f16_e32 v40, 0xbbf7, v1
	;; [unrolled: 1-line block ×4, first 2 shown]
	v_pk_add_f16 v12, v12, v13
	v_mul_f16_e32 v43, 0xb836, v1
	v_lshrrev_b32_e32 v44, 16, v18
	v_mul_f16_e32 v45, 0xbbf7, v17
	v_mul_f16_e32 v46, 0xba62, v17
	v_pk_add_f16 v10, v12, v10
	v_mul_f16_e32 v83, 0xb1e1, v17
	v_mul_f16_e32 v84, 0x3836, v17
	v_mul_f16_e32 v85, 0x3bb2, v17
	v_mul_f16_e32 v86, 0x3b29, v17
	v_pk_add_f16 v10, v10, v11
	v_lshrrev_b32_e32 v87, 16, v21
	v_mul_f16_e32 v88, 0xba62, v19
	v_mul_f16_e32 v89, 0x31e1, v19
	;; [unrolled: 1-line block ×3, first 2 shown]
	v_pk_add_f16 v10, v10, v2
	v_mul_f16_e32 v91, 0x3964, v19
	v_mul_f16_e32 v92, 0xb5c8, v19
	;; [unrolled: 1-line block ×3, first 2 shown]
	v_lshrrev_b32_e32 v94, 16, v26
	v_mul_f16_e32 v95, 0xb1e1, v25
	v_mul_f16_e32 v96, 0x3bb2, v25
	;; [unrolled: 1-line block ×6, first 2 shown]
	v_lshrrev_b32_e32 v101, 16, v1
	v_pk_mul_f16 v103, 0x3b7639e9, v16
	v_pk_add_f16 v10, v10, v3
	v_pk_add_f16 v34, v8, v11
	v_pk_add_f16 v33, v11, v8 neg_lo:[0,1] neg_hi:[0,1]
	v_lshrrev_b32_e32 v36, 16, v0
	v_lshrrev_b32_e32 v102, 16, v17
	v_pk_mul_f16 v104, 0x39e92de8, v18
	v_fmamk_f16 v115, v37, 0x39e9, v38
	v_fma_f16 v116, v37, 0x39e9, -v38
	v_fmamk_f16 v117, v37, 0x3722, v39
	v_fma_f16 v118, v37, 0x3722, -v39
	;; [unrolled: 2-line block ×7, first 2 shown]
	v_fma_f16 v128, 0xb8d2, v44, v46
	v_fma_f16 v46, v44, 0xb8d2, -v46
	v_fma_f16 v129, 0xbbdd, v44, v83
	v_fma_f16 v83, v44, 0xbbdd, -v83
	;; [unrolled: 2-line block ×11, first 2 shown]
	v_fmamk_f16 v93, v94, 0xbbdd, v95
	v_fma_f16 v95, v94, 0xbbdd, -v95
	v_fma_f16 v139, 0xb461, v94, v96
	v_fma_f16 v96, v94, 0xb461, -v96
	v_fma_f16 v140, 0x3b76, v94, v97
	v_fma_f16 v97, v94, 0x3b76, -v97
	v_fma_f16 v141, 0x3722, v94, v98
	v_fma_f16 v98, v94, 0x3722, -v98
	v_fma_f16 v142, 0xbacd, v94, v99
	v_fma_f16 v99, v94, 0xbacd, -v99
	v_fma_f16 v143, 0xb8d2, v94, v100
	v_fma_f16 v94, v94, 0xb8d2, -v100
	v_mul_f16_e32 v100, 0xb5c8, v101
	v_pk_fma_f16 v44, 0xb964b5c8, v1, v103 op_sel:[0,0,1] op_sel_hi:[1,1,0] neg_lo:[0,1,0] neg_hi:[0,1,0]
	v_pk_fma_f16 v37, 0xb964b5c8, v1, v103 op_sel:[0,0,1] op_sel_hi:[1,1,0]
	v_pk_add_f16 v8, v10, v8
	v_lshrrev_b32_e32 v105, 16, v19
	v_pk_mul_f16 v106, 0x3722b8d2, v21
	v_mul_f16_e64 v144, 0xb964, v102
	v_pk_fma_f16 v15, 0xbbf7b964, v17, v104 op_sel:[0,0,1] op_sel_hi:[1,1,0] neg_lo:[0,1,0] neg_hi:[0,1,0]
	v_pk_fma_f16 v14, 0xbbf7b964, v17, v104 op_sel:[0,0,1] op_sel_hi:[1,1,0]
	v_add_f16_e32 v114, v36, v115
	v_add_f16_e32 v115, v36, v116
	;; [unrolled: 1-line block ×12, first 2 shown]
	v_fma_f16 v126, v16, 0x3b76, -v100
	v_fmac_f16_e32 v100, 0x3b76, v16
	v_bfi_b32 v163, 0xffff, v37, v44
	v_pk_add_f16 v8, v8, v9
	v_pk_add_f16 v28, v6, v13
	v_pk_add_f16 v27, v13, v6 neg_lo:[0,1] neg_hi:[0,1]
	v_lshrrev_b32_e32 v107, 16, v25
	v_pk_mul_f16 v108, 0x2de8bbdd, v26
	v_mul_f16_e32 v103, 0xbb29, v101
	v_mul_f16_e64 v145, 0xbbf7, v101
	v_mul_f16_e64 v151, 0xbb29, v105
	v_pk_fma_f16 v40, 0xba62bb29, v19, v106 op_sel:[0,0,1] op_sel_hi:[1,1,0] neg_lo:[0,1,0] neg_hi:[0,1,0]
	v_pk_fma_f16 v38, 0xba62bb29, v19, v106 op_sel:[0,0,1] op_sel_hi:[1,1,0]
	v_fma_f16 v162, v18, 0x39e9, -v144
	v_fmac_f16_e64 v144, 0x39e9, v18
	v_bfi_b32 v164, 0xffff, v14, v15
	v_add_f16_e32 v13, v127, v114
	v_add_f16_e64 v114, v128, v116
	v_add_f16_e32 v83, v83, v119
	v_add_f16_e64 v116, v130, v120
	v_add_f16_e32 v119, v0, v126
	v_add_f16_e32 v100, v0, v100
	v_pk_add_f16 v120, v0, v163 op_sel:[1,0] op_sel_hi:[0,1]
	v_pk_add_f16 v6, v8, v6
	v_lshrrev_b32_e32 v111, 16, v27
	v_pk_mul_f16 v112, 0xb461bacd, v28
	v_mul_f16_e32 v104, 0xba62, v102
	v_mul_f16_e64 v146, 0xb1e1, v102
	v_mul_f16_e64 v147, 0xbbb2, v101
	;; [unrolled: 1-line block ×3, first 2 shown]
	v_mul_f16_e32 v101, 0xb836, v101
	v_mul_f16_e64 v155, 0xbbf7, v107
	v_pk_fma_f16 v41, 0xb1e1bbf7, v25, v108 op_sel:[0,0,1] op_sel_hi:[1,1,0] neg_lo:[0,1,0] neg_hi:[0,1,0]
	v_pk_fma_f16 v39, 0xb1e1bbf7, v25, v108 op_sel:[0,0,1] op_sel_hi:[1,1,0]
	v_fma_f16 v165, v16, 0x3722, -v103
	v_fmac_f16_e32 v103, 0x3722, v16
	v_fma_f16 v167, v16, 0x2de8, -v145
	v_fma_f16 v175, v21, 0x3722, -v151
	v_fmac_f16_e64 v151, 0x3722, v21
	v_bfi_b32 v176, 0xffff, v38, v40
	v_add_f16_e32 v45, v45, v115
	v_add_f16_e32 v86, v86, v125
	v_add_f16_e64 v12, v162, v119
	v_add_f16_e64 v100, v144, v100
	v_pk_add_f16 v119, v164, v120
	v_pk_add_f16 v6, v6, v7
	v_lshrrev_b32_e32 v109, 16, v28
	v_mul_f16_e32 v113, 0x3964, v27
	v_mul_f16_e64 v148, 0x3836, v102
	v_mul_f16_e64 v150, 0x3bb2, v102
	v_mul_f16_e32 v102, 0x3b29, v102
	v_mul_f16_e32 v106, 0x31e1, v105
	v_mul_f16_e64 v152, 0x3bb2, v105
	v_mul_f16_e64 v160, 0xbbb2, v111
	v_pk_fma_f16 v43, 0x3836bbb2, v27, v112 op_sel:[0,0,1] op_sel_hi:[1,1,0] neg_lo:[0,1,0] neg_hi:[0,1,0]
	v_pk_fma_f16 v42, 0x3836bbb2, v27, v112 op_sel:[0,0,1] op_sel_hi:[1,1,0]
	v_fma_f16 v166, v18, 0xb8d2, -v104
	v_fmac_f16_e32 v104, 0xb8d2, v18
	v_fma_f16 v168, v18, 0xbbdd, -v146
	v_fma_f16 v169, v16, 0xb461, -v147
	;; [unrolled: 1-line block ×3, first 2 shown]
	v_fmac_f16_e32 v101, 0xbacd, v16
	v_fma_f16 v182, v26, 0x2de8, -v155
	v_fmac_f16_e64 v155, 0x2de8, v26
	v_bfi_b32 v183, 0xffff, v39, v41
	v_add_f16_e32 v46, v46, v117
	v_add_f16_e32 v84, v84, v121
	v_add_f16_e64 v117, v131, v122
	v_add_f16_e64 v121, v0, v165
	v_add_f16_e32 v103, v0, v103
	v_add_f16_e64 v122, v0, v167
	v_add_f16_e32 v45, v88, v45
	;; [unrolled: 2-line block ×3, first 2 shown]
	v_add_f16_e64 v11, v175, v12
	v_add_f16_e64 v12, v151, v100
	v_pk_add_f16 v87, v176, v119
	v_pk_add_f16 v4, v6, v4
	v_mul_f16_e64 v153, 0x3964, v105
	v_mul_f16_e32 v108, 0x3bb2, v107
	v_mul_f16_e64 v156, 0x35c8, v107
	v_fmamk_f16 v112, v109, 0x39e9, v113
	v_fmac_f16_e64 v145, 0x2de8, v16
	v_fma_f16 v170, v18, 0xbacd, -v148
	v_fma_f16 v174, v18, 0x3722, -v102
	v_fmac_f16_e32 v102, 0x3722, v18
	v_fma_f16 v177, v21, 0xbbdd, -v106
	v_fmac_f16_e32 v106, 0xbbdd, v21
	v_fma_f16 v178, v21, 0xb461, -v152
	v_fma_f16 v189, v28, 0xb461, -v160
	v_fmac_f16_e64 v160, 0xb461, v28
	v_bfi_b32 v190, 0xffff, v42, v43
	v_add_f16_e64 v115, v129, v118
	v_add_f16_e32 v85, v85, v123
	v_add_f16_e64 v118, v132, v124
	v_add_f16_e64 v124, v0, v169
	v_add_f16_e32 v101, v0, v101
	v_add_f16_e64 v120, v166, v121
	v_add_f16_e32 v103, v104, v103
	;; [unrolled: 2-line block ×3, first 2 shown]
	v_add_f16_e32 v84, v91, v84
	v_add_f16_e64 v88, v139, v88
	v_add_f16_e64 v9, v182, v11
	v_add_f16_e64 v11, v155, v12
	v_pk_add_f16 v12, v183, v87
	v_pk_add_f16 v4, v4, v5
	v_mul_f16_e64 v157, 0xbb29, v107
	v_fmac_f16_e64 v146, 0xbbdd, v18
	v_fmac_f16_e64 v147, 0xb461, v16
	v_fma_f16 v179, v21, 0x39e9, -v153
	v_fma_f16 v184, v26, 0xb461, -v108
	;; [unrolled: 1-line block ×3, first 2 shown]
	v_add_f16_e64 v123, v0, v145
	v_add_f16_e64 v122, v170, v124
	v_add_f16_e32 v101, v102, v101
	v_add_f16_e64 v89, v135, v115
	v_add_f16_e64 v91, v137, v117
	v_add_f16_e32 v85, v92, v85
	;; [unrolled: 3-line block ×3, first 2 shown]
	v_add_f16_e64 v103, v178, v104
	v_add_f16_e32 v46, v96, v46
	v_add_f16_e32 v84, v98, v84
	v_add_f16_e64 v5, v160, v11
	v_pk_add_f16 v11, v190, v12
	v_add_f16_e32 v12, v112, v88
	v_mul_f16_e32 v88, 0xbb29, v111
	v_fma_f16 v98, v109, 0x39e9, -v113
	v_pk_add_f16 v4, v4, v35
	v_mul_f16_e32 v35, 0xbb29, v27
	v_fmac_f16_e64 v148, 0xbacd, v18
	v_fma_f16 v171, v16, 0xb8d2, -v149
	v_fmac_f16_e64 v149, 0xb8d2, v16
	v_fmac_f16_e64 v152, 0xb461, v21
	v_fma_f16 v186, v26, 0x3722, -v157
	v_add_f16_e64 v125, v0, v147
	v_add_f16_e64 v121, v146, v123
	v_add_f16_e32 v83, v90, v83
	v_add_f16_e64 v106, v179, v122
	v_add_f16_e64 v89, v140, v89
	;; [unrolled: 1-line block ×3, first 2 shown]
	v_add_f16_e32 v85, v99, v85
	v_add_f16_e64 v91, v143, v92
	v_add_f16_e64 v87, v184, v100
	;; [unrolled: 1-line block ×3, first 2 shown]
	v_fma_f16 v99, v28, 0x3722, -v88
	v_add_f16_e32 v46, v98, v46
	v_mul_f16_e32 v98, 0xb1e1, v111
	v_fmamk_f16 v100, v109, 0x3722, v35
	v_mul_f16_e64 v154, 0xb5c8, v105
	v_mul_f16_e32 v105, 0xbbf7, v105
	v_fma_f16 v172, v18, 0xb461, -v150
	v_fmac_f16_e64 v150, 0xb461, v18
	v_fmac_f16_e64 v153, 0x39e9, v21
	;; [unrolled: 1-line block ×3, first 2 shown]
	v_add_f16_e64 v127, v0, v149
	v_add_f16_e64 v123, v148, v125
	;; [unrolled: 1-line block ×5, first 2 shown]
	v_add_f16_e32 v83, v97, v83
	v_add_f16_e32 v86, v94, v86
	v_add_f16_e64 v94, v186, v106
	v_add_f16_e32 v92, v99, v92
	v_fma_f16 v35, v109, 0x3722, -v35
	v_fma_f16 v99, v28, 0xbbdd, -v98
	v_add_f16_e32 v89, v100, v89
	v_mul_f16_e32 v100, 0xb1e1, v27
	v_mul_f16_e64 v158, 0xb836, v107
	v_mul_f16_e32 v107, 0x3a62, v107
	v_fma_f16 v180, v21, 0x3b76, -v154
	v_fmac_f16_e64 v154, 0x3b76, v21
	v_fma_f16 v181, v21, 0x2de8, -v105
	v_fmac_f16_e32 v105, 0x2de8, v21
	v_fmac_f16_e64 v157, 0x3722, v26
	v_add_f16_e64 v126, v0, v171
	v_add_f16_e64 v128, v0, v173
	;; [unrolled: 1-line block ×4, first 2 shown]
	v_add_f16_e32 v13, v93, v13
	v_add_f16_e64 v90, v141, v90
	v_add_f16_e64 v93, v156, v104
	v_fmac_f16_e32 v88, 0x3722, v28
	v_add_f16_e32 v35, v35, v83
	v_add_f16_e32 v83, v99, v94
	v_fmamk_f16 v94, v109, 0xbbdd, v100
	v_fma_f16 v99, v109, 0xbbdd, -v100
	v_mul_f16_e32 v100, 0x3bf7, v27
	v_fma_f16 v187, v26, 0xbacd, -v158
	v_fmac_f16_e64 v158, 0xbacd, v26
	v_fma_f16 v188, v26, 0xb8d2, -v107
	v_fmac_f16_e32 v107, 0xb8d2, v26
	v_add_f16_e64 v124, v172, v126
	v_add_f16_e64 v126, v174, v128
	;; [unrolled: 1-line block ×3, first 2 shown]
	v_add_f16_e32 v101, v105, v101
	v_add_f16_e64 v7, v157, v114
	v_add_f16_e32 v88, v88, v93
	v_mul_f16_e32 v93, 0x3bf7, v111
	v_fmac_f16_e32 v98, 0xbbdd, v28
	v_add_f16_e32 v90, v94, v90
	v_fmamk_f16 v94, v109, 0x2de8, v100
	v_add_f16_e64 v117, v181, v126
	v_add_f16_e64 v96, v158, v116
	v_add_f16_e32 v6, v107, v101
	v_fma_f16 v101, v28, 0x2de8, -v93
	v_add_f16_e32 v7, v98, v7
	v_add_f16_e32 v84, v99, v84
	v_mul_f16_e32 v98, 0xb5c8, v111
	v_fmac_f16_e32 v93, 0x2de8, v28
	v_fma_f16 v99, v109, 0x2de8, -v100
	v_add_f16_e32 v10, v94, v10
	v_mul_f16_e32 v94, 0xb5c8, v27
	v_add_f16_e64 v115, v180, v124
	v_add_f16_e64 v97, v188, v117
	v_fma_f16 v100, v28, 0x3b76, -v98
	v_add_f16_e32 v93, v93, v96
	v_add_f16_e32 v85, v99, v85
	v_lshrrev_b32_e32 v96, 16, v29
	v_fmamk_f16 v99, v109, 0x3b76, v94
	v_mul_f16_e32 v110, 0x3836, v27
	v_fmac_f16_e32 v108, 0xb461, v26
	v_add_f16_e32 v45, v95, v45
	v_add_f16_e64 v95, v187, v115
	v_add_f16_e32 v97, v100, v97
	v_fmac_f16_e32 v98, 0x3b76, v28
	v_fma_f16 v94, v109, 0x3b76, -v94
	v_mul_f16_e32 v100, 0xba62, v96
	v_add_f16_e32 v91, v99, v91
	v_pk_mul_f16 v99, 0xb8d2b461, v31
	v_fma_f16 v159, 0xbacd, v109, v110
	v_fma_f16 v110, v109, 0xbacd, -v110
	v_mul_f16_e64 v161, 0x3964, v111
	v_add_f16_e32 v8, v108, v102
	v_add_f16_e64 v9, v189, v9
	v_add_f16_e32 v95, v101, v95
	v_add_f16_e32 v6, v98, v6
	;; [unrolled: 1-line block ×3, first 2 shown]
	v_fma_f16 v94, v31, 0xb8d2, -v100
	v_fmac_f16_e32 v100, 0xb8d2, v31
	v_pk_fma_f16 v98, 0x3bb2ba62, v29, v99 op_sel:[0,0,1] op_sel_hi:[1,1,0] neg_lo:[0,1,0] neg_hi:[0,1,0]
	v_pk_fma_f16 v99, 0x3bb2ba62, v29, v99 op_sel:[0,0,1] op_sel_hi:[1,1,0]
	v_lshrrev_b32_e32 v101, 16, v31
	v_mul_f16_e32 v102, 0x3bb2, v29
	v_fma_f16 v191, v28, 0x39e9, -v161
	v_add_f16_e32 v45, v110, v45
	v_fmac_f16_e64 v161, 0x39e9, v28
	v_add_f16_e32 v9, v94, v9
	v_add_f16_e32 v5, v100, v5
	v_mul_f16_e32 v94, 0xb5c8, v96
	v_bfi_b32 v100, 0xffff, v99, v98
	v_fmamk_f16 v103, v101, 0xb461, v102
	v_fma_f16 v102, v101, 0xb461, -v102
	v_mul_f16_e32 v104, 0xb5c8, v29
	v_add_f16_e64 v13, v159, v13
	v_add_f16_e64 v8, v161, v8
	v_fma_f16 v105, v31, 0x3b76, -v94
	v_pk_add_f16 v11, v100, v11
	v_add_f16_e32 v45, v102, v45
	v_fmamk_f16 v100, v101, 0x3b76, v104
	v_mul_f16_e32 v102, 0xb836, v96
	v_fmac_f16_e32 v94, 0x3b76, v31
	v_add_f16_e32 v13, v103, v13
	v_fma_f16 v103, v101, 0x3b76, -v104
	v_add_f16_e32 v12, v100, v12
	v_mul_f16_e32 v100, 0xb836, v29
	v_fma_f16 v104, v31, 0xbacd, -v102
	v_add_f16_e32 v8, v94, v8
	v_mul_f16_e32 v94, 0x3bf7, v96
	v_add_f16_e32 v46, v103, v46
	v_fmamk_f16 v103, v101, 0xbacd, v100
	v_add_f16_e32 v92, v104, v92
	v_fmac_f16_e32 v102, 0xbacd, v31
	v_fma_f16 v104, v31, 0x2de8, -v94
	v_fma_f16 v100, v101, 0xbacd, -v100
	v_add_f16_e32 v89, v103, v89
	v_mul_f16_e32 v103, 0x3bf7, v29
	v_fmac_f16_e32 v94, 0x2de8, v31
	v_add_f16_e32 v83, v104, v83
	v_mul_f16_e32 v104, 0xb964, v29
	v_add_f16_e64 v87, v191, v87
	v_add_f16_e32 v88, v102, v88
	v_add_f16_e32 v35, v100, v35
	v_mul_f16_e32 v100, 0xb964, v96
	v_fmamk_f16 v102, v101, 0x2de8, v103
	v_add_f16_e32 v7, v94, v7
	v_fmamk_f16 v94, v101, 0x39e9, v104
	v_add_f16_e32 v87, v105, v87
	v_fma_f16 v105, v31, 0x39e9, -v100
	v_add_f16_e32 v90, v102, v90
	v_fmac_f16_e32 v100, 0x39e9, v31
	v_fma_f16 v102, v101, 0x39e9, -v104
	v_add_f16_e32 v10, v94, v10
	v_mul_f16_e32 v94, 0xb1e1, v29
	v_fma_f16 v103, v101, 0x2de8, -v103
	v_mul_f16_e32 v96, 0xb1e1, v96
	v_add_f16_e32 v93, v100, v93
	v_add_f16_e32 v85, v102, v85
	v_lshrrev_b32_e32 v100, 16, v33
	v_fmamk_f16 v102, v101, 0xbbdd, v94
	v_add_f16_e32 v84, v103, v84
	v_fma_f16 v103, v31, 0xbbdd, -v96
	v_fmac_f16_e32 v96, 0xbbdd, v31
	v_fma_f16 v94, v101, 0xbbdd, -v94
	v_mul_f16_e32 v101, 0xb836, v100
	v_add_f16_e32 v91, v102, v91
	v_pk_mul_f16 v102, 0xbacd3722, v34
	v_add_f16_e32 v6, v96, v6
	v_add_f16_e32 v86, v94, v86
	v_fma_f16 v94, v34, 0xbacd, -v101
	v_fmac_f16_e32 v101, 0xbacd, v34
	v_pk_fma_f16 v96, 0x3b29b836, v33, v102 op_sel:[0,0,1] op_sel_hi:[1,1,0] neg_lo:[0,1,0] neg_hi:[0,1,0]
	v_pk_fma_f16 v102, 0x3b29b836, v33, v102 op_sel:[0,0,1] op_sel_hi:[1,1,0]
	v_add_f16_e32 v97, v103, v97
	v_lshrrev_b32_e32 v103, 16, v34
	v_mul_f16_e32 v104, 0x3b29, v33
	v_add_f16_e32 v5, v101, v5
	v_bfi_b32 v101, 0xffff, v102, v96
	v_mul_f16_e32 v106, 0xbbf7, v33
	v_add_f16_e32 v95, v105, v95
	v_fmamk_f16 v105, v103, 0x3722, v104
	v_add_f16_e32 v9, v94, v9
	v_pk_add_f16 v11, v101, v11
	v_fmamk_f16 v101, v103, 0x2de8, v106
	v_mul_f16_e32 v94, 0xbbf7, v100
	v_fma_f16 v104, v103, 0x3722, -v104
	v_add_f16_e32 v13, v105, v13
	v_fma_f16 v105, v103, 0x2de8, -v106
	v_add_f16_e32 v12, v101, v12
	v_mul_f16_e32 v101, 0x3a62, v33
	v_fma_f16 v107, v34, 0x2de8, -v94
	v_add_f16_e32 v45, v104, v45
	v_mul_f16_e32 v104, 0x3a62, v100
	v_fmac_f16_e32 v94, 0x2de8, v34
	v_add_f16_e32 v46, v105, v46
	v_fmamk_f16 v105, v103, 0xb8d2, v101
	v_fma_f16 v101, v103, 0xb8d2, -v101
	v_fma_f16 v106, v34, 0xb8d2, -v104
	v_add_f16_e32 v8, v94, v8
	v_mul_f16_e32 v94, 0xb5c8, v100
	v_add_f16_e32 v87, v107, v87
	v_add_f16_e32 v101, v101, v35
	v_mul_f16_e32 v35, 0xb1e1, v100
	v_add_f16_e32 v92, v106, v92
	v_fma_f16 v106, v34, 0x3b76, -v94
	v_mul_f16_e32 v100, 0x3964, v100
	v_fmac_f16_e32 v104, 0xb8d2, v34
	v_fma_f16 v107, v34, 0xbbdd, -v35
	v_fmac_f16_e32 v35, 0xbbdd, v34
	v_add_f16_e32 v89, v105, v89
	v_mul_f16_e32 v105, 0xb5c8, v33
	v_add_f16_e32 v83, v106, v83
	v_fmac_f16_e32 v94, 0x3b76, v34
	v_mul_f16_e32 v106, 0xb1e1, v33
	v_add_f16_e32 v93, v35, v93
	v_fma_f16 v35, v34, 0x39e9, -v100
	v_add_f16_e32 v36, v36, v44
	v_lshrrev_b32_e32 v37, 16, v37
	v_add_f16_e32 v88, v104, v88
	v_fmamk_f16 v104, v103, 0x3b76, v105
	v_add_f16_e32 v7, v94, v7
	v_fmamk_f16 v94, v103, 0xbbdd, v106
	v_add_f16_e32 v97, v35, v97
	v_add_f16_e32 v15, v15, v36
	;; [unrolled: 1-line block ×3, first 2 shown]
	v_lshrrev_b32_e32 v14, 16, v14
	v_add_f16_e32 v90, v104, v90
	v_fma_f16 v104, v103, 0xbbdd, -v106
	v_add_f16_e32 v10, v94, v10
	v_mul_f16_e32 v94, 0x3964, v33
	v_add_f16_e32 v15, v40, v15
	v_add_f16_e32 v14, v14, v35
	v_lshrrev_b32_e32 v35, 16, v38
	v_add_f16_e32 v85, v104, v85
	v_fmamk_f16 v44, v103, 0x39e9, v94
	v_pk_add_f16 v104, v2, v3 neg_lo:[0,1] neg_hi:[0,1]
	v_pk_add_f16 v2, v3, v2
	v_fma_f16 v36, v103, 0x39e9, -v94
	v_add_f16_e32 v15, v41, v15
	v_add_f16_e32 v14, v35, v14
	v_lshrrev_b32_e32 v35, 16, v39
	v_add_f16_e32 v44, v44, v91
	v_lshrrev_b32_e32 v91, 16, v104
	v_add_f16_e32 v39, v36, v86
	v_add_f16_e32 v15, v43, v15
	v_pk_mul_f16 v36, 0xbbdd3b76, v2
	v_add_f16_e32 v14, v35, v14
	v_lshrrev_b32_e32 v35, 16, v42
	v_mul_f16_e32 v3, 0xb1e1, v91
	v_add_f16_e32 v15, v98, v15
	v_pk_fma_f16 v38, 0x35c8b1e1, v104, v36 op_sel:[0,0,1] op_sel_hi:[1,1,0] neg_lo:[0,1,0] neg_hi:[0,1,0]
	v_pk_fma_f16 v36, 0x35c8b1e1, v104, v36 op_sel:[0,0,1] op_sel_hi:[1,1,0]
	v_add_f16_e32 v14, v35, v14
	v_lshrrev_b32_e32 v35, 16, v99
	v_fma_f16 v37, v2, 0xbbdd, -v3
	v_fmac_f16_e32 v3, 0xbbdd, v2
	v_add_f16_e32 v15, v96, v15
	v_bfi_b32 v40, 0xffff, v36, v38
	v_lshrrev_b32_e32 v41, 16, v2
	v_mul_f16_e32 v42, 0x35c8, v104
	v_add_f16_e32 v14, v35, v14
	v_lshrrev_b32_e32 v35, 16, v102
	v_add_f16_e32 v9, v37, v9
	v_add_f16_e32 v37, v3, v5
	;; [unrolled: 1-line block ×3, first 2 shown]
	v_pk_add_f16 v3, v40, v11
	v_fmamk_f16 v5, v41, 0x3b76, v42
	v_add_f16_e32 v11, v35, v14
	v_mul_f16_e32 v14, 0xb836, v91
	v_lshrrev_b32_e32 v15, 16, v36
	v_mul_f16_e32 v40, 0xb836, v104
	v_fma_f16 v36, v41, 0x3b76, -v42
	v_add_f16_e32 v5, v5, v13
	v_fma_f16 v13, v2, 0xbacd, -v14
	v_add_f16_e32 v35, v15, v11
	v_fmamk_f16 v11, v41, 0xbacd, v40
	v_fmac_f16_e32 v14, 0xbacd, v2
	v_fma_f16 v40, v41, 0xbacd, -v40
	v_mul_f16_e32 v42, 0x3964, v104
	v_fma_f16 v105, v103, 0x3b76, -v105
	v_add_f16_e32 v13, v13, v87
	v_add_f16_e32 v8, v14, v8
	;; [unrolled: 1-line block ×3, first 2 shown]
	v_fmamk_f16 v43, v41, 0x39e9, v42
	v_mul_f16_e32 v46, 0xba62, v104
	v_add_f16_e32 v84, v105, v84
	v_mul_f16_e32 v87, 0x3b29, v104
	v_mul_f16_e32 v15, 0x3964, v91
	v_add_f16_e32 v86, v43, v89
	v_fmamk_f16 v43, v41, 0xb8d2, v46
	v_fma_f16 v46, v41, 0xb8d2, -v46
	v_pk_mul_f16 v16, 0xbbdd, v16 op_sel_hi:[0,1]
	v_add_f16_e32 v11, v11, v12
	v_fma_f16 v12, v2, 0x39e9, -v15
	v_fmac_f16_e32 v15, 0x39e9, v2
	v_add_f16_e32 v46, v46, v84
	v_fma_f16 v84, v41, 0x3722, -v87
	v_pk_mul_f16 v18, 0x3b76, v18 op_sel_hi:[0,1]
	v_pk_mul_f16 v21, 0xbacd, v21 op_sel_hi:[0,1]
	v_add_f16_e32 v15, v15, v88
	v_add_f16_e32 v88, v43, v90
	;; [unrolled: 1-line block ×3, first 2 shown]
	v_pk_fma_f16 v85, 0xb1e1, v1, v16 op_sel:[0,0,1] op_sel_hi:[0,1,0] neg_lo:[0,1,0] neg_hi:[0,1,0]
	v_pk_fma_f16 v1, 0xb1e1, v1, v16 op_sel:[0,0,1] op_sel_hi:[0,1,0]
	v_fmamk_f16 v43, v41, 0x3722, v87
	v_pk_fma_f16 v87, 0x35c8, v17, v18 op_sel:[0,0,1] op_sel_hi:[0,1,0] neg_lo:[0,1,0] neg_hi:[0,1,0]
	v_pk_fma_f16 v17, 0x35c8, v17, v18 op_sel:[0,0,1] op_sel_hi:[0,1,0]
	v_pk_add_f16 v85, v0, v85 op_sel:[1,0] op_sel_hi:[0,1]
	v_pk_add_f16 v0, v0, v1 op_sel:[1,0] op_sel_hi:[0,1]
	v_fmac_f16_e32 v100, 0x39e9, v34
	v_mul_f16_e32 v16, 0xbbb2, v91
	v_mul_f16_e32 v40, 0xba62, v91
	v_pk_add_f16 v85, v87, v85
	v_pk_add_f16 v0, v17, v0
	v_pk_fma_f16 v17, 0xb836, v19, v21 op_sel:[0,0,1] op_sel_hi:[0,1,0] neg_lo:[0,1,0] neg_hi:[0,1,0]
	v_pk_fma_f16 v19, 0xb836, v19, v21 op_sel:[0,0,1] op_sel_hi:[0,1,0]
	v_pk_mul_f16 v21, 0x39e9, v26 op_sel_hi:[0,1]
	v_add_f16_e32 v6, v100, v6
	v_fma_f16 v1, v2, 0xb461, -v16
	v_mul_f16_e32 v18, 0xbbb2, v104
	v_fmac_f16_e32 v16, 0xb461, v2
	v_pk_add_f16 v17, v17, v85
	v_pk_add_f16 v0, v19, v0
	v_pk_fma_f16 v19, 0x3964, v25, v21 op_sel:[0,0,1] op_sel_hi:[0,1,0] neg_lo:[0,1,0] neg_hi:[0,1,0]
	v_pk_fma_f16 v21, 0x3964, v25, v21 op_sel:[0,0,1] op_sel_hi:[0,1,0]
	v_pk_mul_f16 v25, 0xb8d2, v28 op_sel_hi:[0,1]
	v_add_f16_e32 v36, v36, v45
	v_fma_f16 v45, v2, 0xb8d2, -v40
	v_fmamk_f16 v89, v41, 0xb461, v18
	v_add_f16_e32 v6, v16, v6
	v_fma_f16 v16, v41, 0xb461, -v18
	v_pk_add_f16 v17, v19, v17
	v_pk_add_f16 v0, v21, v0
	v_pk_fma_f16 v18, 0xba62, v27, v25 op_sel:[0,0,1] op_sel_hi:[0,1,0] neg_lo:[0,1,0] neg_hi:[0,1,0]
	v_pk_fma_f16 v19, 0xba62, v27, v25 op_sel:[0,0,1] op_sel_hi:[0,1,0]
	v_pk_mul_f16 v21, 0x3722, v31 op_sel_hi:[0,1]
	v_add_f16_e32 v45, v45, v83
	v_fmac_f16_e32 v40, 0xb8d2, v2
	v_mul_f16_e32 v83, 0x3b29, v91
	v_pk_add_f16 v17, v18, v17
	v_pk_add_f16 v0, v19, v0
	v_pk_fma_f16 v18, 0x3b29, v29, v21 op_sel:[0,0,1] op_sel_hi:[0,1,0] neg_lo:[0,1,0] neg_hi:[0,1,0]
	v_pk_fma_f16 v19, 0x3b29, v29, v21 op_sel:[0,0,1] op_sel_hi:[0,1,0]
	v_pk_mul_f16 v21, 0xb461, v34 op_sel_hi:[0,1]
	v_add_f16_e32 v7, v40, v7
	v_fma_f16 v40, v2, 0x3722, -v83
	v_fmac_f16_e32 v83, 0x3722, v2
	v_add_f16_e32 v10, v43, v10
	v_mul_lo_u16 v43, v30, 17
	v_pk_add_f16 v17, v18, v17
	v_pk_add_f16 v0, v19, v0
	v_pk_fma_f16 v18, 0xbbb2, v33, v21 op_sel:[0,0,1] op_sel_hi:[0,1,0] neg_lo:[0,1,0] neg_hi:[0,1,0]
	v_pk_fma_f16 v19, 0xbbb2, v33, v21 op_sel:[0,0,1] op_sel_hi:[0,1,0]
	v_pk_mul_f16 v2, 0x2de8, v2 op_sel_hi:[0,1]
	v_add_f16_e32 v95, v107, v95
	v_add_f16_e32 v12, v12, v92
	v_and_b32_e32 v43, 0xffff, v43
	v_add_f16_e32 v1, v1, v97
	v_add_f16_e32 v26, v89, v44
	v_pk_add_f16 v17, v18, v17
	v_pk_add_f16 v0, v19, v0
	v_pk_fma_f16 v18, 0x3bf7, v104, v2 op_sel:[0,0,1] op_sel_hi:[0,1,0] neg_lo:[0,1,0] neg_hi:[0,1,0]
	v_pk_fma_f16 v2, 0x3bf7, v104, v2 op_sel:[0,0,1] op_sel_hi:[0,1,0]
	v_fma_f16 v42, v41, 0x39e9, -v42
	v_add_f16_e32 v40, v40, v95
	v_lshlrev_b32_e32 v43, 2, v43
	v_alignbit_b32 v5, v5, v3, 16
	v_pack_b32_f16 v3, v9, v3
	v_pack_b32_f16 v9, v12, v86
	;; [unrolled: 1-line block ×3, first 2 shown]
	v_pk_add_f16 v12, v18, v17
	v_pk_add_f16 v0, v2, v0
	v_add_f16_e32 v83, v83, v93
	v_add_f16_e32 v16, v16, v39
	;; [unrolled: 1-line block ×3, first 2 shown]
	v_pack_b32_f16 v2, v13, v11
	v_pack_b32_f16 v10, v40, v10
	;; [unrolled: 1-line block ×3, first 2 shown]
	ds_store_2addr_b32 v43, v4, v1 offset1:7
	v_alignbit_b32 v1, v12, v0, 16
	v_alignbit_b32 v0, v0, v12, 16
	v_pack_b32_f16 v4, v83, v84
	v_pack_b32_f16 v6, v6, v16
	;; [unrolled: 1-line block ×7, first 2 shown]
	ds_store_2addr_b32 v43, v3, v5 offset0:1 offset1:2
	ds_store_2addr_b32 v43, v2, v9 offset0:3 offset1:4
	;; [unrolled: 1-line block ×7, first 2 shown]
	ds_store_b32 v43, v14 offset:64
	v_add_nc_u32_e32 v0, 0x200, v47
	v_add_nc_u32_e32 v1, 0xa00, v47
	global_wb scope:SCOPE_SE
	s_wait_dscnt 0x0
	s_barrier_signal -1
	s_barrier_wait -1
	global_inv scope:SCOPE_SE
	ds_load_2addr_b32 v[18:19], v47 offset1:85
	ds_load_2addr_b32 v[16:17], v0 offset0:42 offset1:161
	ds_load_2addr_b32 v[28:29], v20 offset0:66 offset1:151
	ds_load_2addr_b32 v[20:21], v1 offset0:108 offset1:227
	ds_load_2addr_b32 v[26:27], v24 offset0:132 offset1:217
	ds_load_2addr_b32 v[24:25], v22 offset0:118 offset1:203
	ds_load_2addr_b32 v[22:23], v23 offset0:56 offset1:141
	ds_load_b32 v44, v47 offset:5304
	v_add_co_u32 v33, s0, s8, v47
	s_wait_alu 0xf1ff
	v_add_co_ci_u32_e64 v34, null, s9, 0, s0
                                        ; implicit-def: $vgpr40
                                        ; implicit-def: $vgpr45
                                        ; implicit-def: $vgpr41
                                        ; implicit-def: $vgpr46
                                        ; implicit-def: $vgpr42
                                        ; implicit-def: $vgpr92
	s_and_saveexec_b32 s0, vcc_lo
	s_cbranch_execz .LBB0_3
; %bb.2:
	ds_load_b32 v35, v47 offset:1020
	ds_load_b32 v37, v47 offset:2176
	;; [unrolled: 1-line block ×5, first 2 shown]
	s_wait_dscnt 0x4
	v_lshrrev_b32_e32 v36, 16, v35
	s_wait_dscnt 0x3
	v_lshrrev_b32_e32 v38, 16, v37
	;; [unrolled: 2-line block ×5, first 2 shown]
.LBB0_3:
	s_wait_alu 0xfffe
	s_or_b32 exec_lo, exec_lo, s0
	v_and_b32_e32 v0, 0xff, v74
	v_add_nc_u16 v1, v74, 0x55
	s_wait_dscnt 0x6
	v_lshrrev_b32_e32 v93, 16, v17
	s_wait_dscnt 0x5
	v_lshrrev_b32_e32 v94, 16, v28
	;; [unrolled: 2-line block ×3, first 2 shown]
	v_mul_lo_u16 v0, 0xf1, v0
	v_and_b32_e32 v2, 0xff, v1
	s_wait_dscnt 0x3
	v_lshrrev_b32_e32 v96, 16, v26
	s_wait_dscnt 0x2
	v_lshrrev_b32_e32 v97, 16, v24
	v_lshrrev_b32_e32 v110, 16, v29
	v_lshrrev_b16 v85, 12, v0
	v_add_nc_u16 v0, v74, 0xaa
	v_mul_lo_u16 v2, 0xf1, v2
	s_wait_dscnt 0x1
	v_lshrrev_b32_e32 v111, 16, v22
	v_lshrrev_b32_e32 v112, 16, v27
	v_mul_lo_u16 v3, v85, 17
	v_and_b32_e32 v4, 0xff, v0
	v_lshrrev_b16 v86, 12, v2
	v_and_b32_e32 v85, 0xffff, v85
	v_lshrrev_b32_e32 v113, 16, v25
	v_sub_nc_u16 v3, v74, v3
	v_mul_lo_u16 v4, 0xf1, v4
	v_mul_lo_u16 v2, v86, 17
	v_and_b32_e32 v86, 0xffff, v86
	v_mul_u32_u24_e32 v85, 0x55, v85
	v_and_b32_e32 v87, 0xff, v3
	v_lshrrev_b16 v88, 12, v4
	v_sub_nc_u16 v1, v1, v2
	v_add_nc_u16 v2, v74, 0xff
	v_mul_u32_u24_e32 v86, 0x55, v86
	v_lshlrev_b32_e32 v3, 4, v87
	v_mul_lo_u16 v4, v88, 17
	v_and_b32_e32 v90, 0xff, v1
	v_and_b32_e32 v1, 0xffff, v2
	;; [unrolled: 1-line block ×3, first 2 shown]
	global_load_b128 v[12:15], v3, s[10:11]
	v_sub_nc_u16 v0, v0, v4
	v_lshrrev_b32_e32 v114, 16, v20
	v_mul_u32_u24_e32 v1, 0xf0f1, v1
	v_mul_u32_u24_e32 v88, 0x55, v88
	v_lshrrev_b32_e32 v115, 16, v23
	v_and_b32_e32 v91, 0xff, v0
	v_lshlrev_b32_e32 v0, 4, v90
	s_wait_dscnt 0x0
	v_lshrrev_b32_e32 v116, 16, v44
	v_add_lshl_u32 v89, v85, v87, 2
	v_add_lshl_u32 v86, v86, v90, 2
	;; [unrolled: 1-line block ×3, first 2 shown]
	global_load_b128 v[8:11], v0, s[10:11]
	v_lshrrev_b32_e32 v0, 20, v1
	v_lshlrev_b32_e32 v3, 4, v91
	v_lshrrev_b32_e32 v39, 16, v18
	v_lshrrev_b32_e32 v30, 16, v19
	;; [unrolled: 1-line block ×3, first 2 shown]
	scratch_store_b32 off, v0, off          ; 4-byte Folded Spill
	v_mul_lo_u16 v0, v0, 17
	global_load_b128 v[4:7], v3, s[10:11]
	v_sub_nc_u16 v84, v2, v0
	s_delay_alu instid0(VALU_DEP_1) | instskip(NEXT) | instid1(VALU_DEP_1)
	v_lshlrev_b16 v0, 2, v84
	v_and_b32_e32 v0, 0xffff, v0
	s_delay_alu instid0(VALU_DEP_1)
	v_lshlrev_b32_e32 v0, 2, v0
	global_load_b128 v[0:3], v0, s[10:11]
	global_wb scope:SCOPE_SE
	s_wait_loadcnt 0x0
	s_wait_storecnt 0x0
	s_barrier_signal -1
	s_barrier_wait -1
	global_inv scope:SCOPE_SE
	v_lshrrev_b32_e32 v109, 16, v12
	v_lshrrev_b32_e32 v108, 16, v13
	;; [unrolled: 1-line block ×4, first 2 shown]
	s_delay_alu instid0(VALU_DEP_4)
	v_mul_f16_e32 v87, v93, v109
	v_mul_f16_e32 v117, v17, v109
	v_mul_f16_e32 v88, v94, v108
	v_mul_f16_e32 v118, v28, v108
	v_mul_f16_e32 v90, v95, v106
	v_mul_f16_e32 v119, v21, v106
	v_mul_f16_e32 v91, v96, v105
	v_mul_f16_e32 v120, v26, v105
	v_lshrrev_b32_e32 v107, 16, v8
	v_lshrrev_b32_e32 v104, 16, v9
	;; [unrolled: 1-line block ×4, first 2 shown]
	v_fma_f16 v121, v17, v12, -v87
	v_fmac_f16_e32 v117, v93, v12
	v_fma_f16 v28, v28, v13, -v88
	v_lshrrev_b32_e32 v101, 16, v4
	v_lshrrev_b32_e32 v100, 16, v5
	;; [unrolled: 1-line block ×4, first 2 shown]
	v_fmac_f16_e32 v118, v94, v13
	v_fma_f16 v93, v21, v14, -v90
	v_fmac_f16_e32 v119, v95, v14
	v_fma_f16 v94, v26, v15, -v91
	v_fmac_f16_e32 v120, v96, v15
	v_mul_f16_e32 v17, v97, v107
	v_mul_f16_e32 v95, v24, v107
	;; [unrolled: 1-line block ×11, first 2 shown]
	v_mul_f16_e64 v128, v20, v100
	v_mul_f16_e64 v129, v115, v99
	;; [unrolled: 1-line block ×5, first 2 shown]
	v_lshrrev_b32_e32 v87, 16, v0
	v_lshrrev_b32_e32 v91, 16, v1
	;; [unrolled: 1-line block ×4, first 2 shown]
	v_fma_f16 v133, v24, v8, -v17
	v_fmac_f16_e32 v95, v97, v8
	v_fma_f16 v29, v29, v9, -v21
	v_fmac_f16_e32 v96, v110, v9
	;; [unrolled: 2-line block ×5, first 2 shown]
	v_fma_f16 v111, v20, v5, -v127
	v_fmac_f16_e64 v128, v114, v5
	v_fma_f16 v112, v23, v6, -v129
	v_fmac_f16_e64 v130, v115, v6
	;; [unrolled: 2-line block ×3, first 2 shown]
	v_mul_f16_e32 v23, v38, v87
	v_mul_f16_e32 v22, v37, v87
	;; [unrolled: 1-line block ×8, first 2 shown]
	v_add_f16_e32 v115, v18, v121
	v_add_f16_e32 v116, v28, v93
	v_sub_f16_e32 v123, v117, v120
	v_sub_f16_e32 v127, v121, v28
	v_sub_f16_e64 v129, v94, v93
	v_add_f16_e64 v131, v121, v94
	v_sub_f16_e64 v134, v28, v121
	v_sub_f16_e64 v135, v93, v94
	v_add_f16_e64 v136, v39, v117
	v_add_f16_e64 v137, v118, v119
	v_sub_f16_e64 v139, v117, v118
	v_sub_f16_e64 v140, v120, v119
	v_add_f16_e64 v141, v117, v120
	v_sub_f16_e32 v117, v118, v117
	v_sub_f16_e64 v142, v119, v120
	v_sub_f16_e32 v125, v118, v119
	v_sub_f16_e32 v121, v121, v94
	v_sub_f16_e64 v138, v28, v93
	v_fma_f16 v26, v37, v0, -v23
	v_fmac_f16_e32 v22, v38, v0
	v_fma_f16 v25, v40, v1, -v24
	v_fmac_f16_e32 v21, v45, v1
	;; [unrolled: 2-line block ×4, first 2 shown]
	v_add_f16_e32 v28, v115, v28
	v_fma_f16 v42, -0.5, v116, v18
	v_add_f16_e64 v45, v127, v129
	v_fma_f16 v46, -0.5, v131, v18
	v_add_f16_e64 v113, v134, v135
	v_add_f16_e64 v18, v136, v118
	v_fma_f16 v114, -0.5, v137, v39
	v_add_f16_e64 v115, v139, v140
	v_fmac_f16_e64 v39, -0.5, v141
	v_add_f16_e64 v116, v117, v142
	v_add_f16_e64 v37, v19, v133
	v_add_f16_e32 v38, v29, v97
	v_sub_f16_e32 v117, v95, v124
	v_sub_f16_e64 v40, v133, v29
	v_sub_f16_e32 v41, v110, v97
	v_add_f16_e64 v92, v133, v110
	v_sub_f16_e64 v127, v29, v133
	v_sub_f16_e64 v129, v97, v110
	v_add_f16_e64 v131, v30, v95
	v_add_f16_e64 v134, v96, v122
	v_sub_f16_e64 v136, v95, v96
	v_add_f16_e64 v139, v95, v124
	v_sub_f16_e32 v95, v96, v95
	v_sub_f16_e64 v140, v122, v124
	v_add_f16_e64 v141, v16, v27
	v_sub_f16_e64 v145, v27, v111
	v_sub_f16_e64 v146, v44, v112
	;; [unrolled: 1-line block ×4, first 2 shown]
	v_add_f16_e64 v150, v31, v126
	v_add_f16_e64 v151, v128, v130
	v_sub_f16_e64 v137, v124, v122
	v_add_f16_e64 v142, v111, v112
	v_add_f16_e64 v147, v27, v44
	;; [unrolled: 1-line block ×3, first 2 shown]
	v_sub_f16_e64 v133, v133, v110
	v_sub_f16_e64 v143, v126, v132
	v_sub_f16_e64 v144, v128, v130
	v_sub_f16_e64 v152, v27, v44
	v_sub_f16_e64 v27, v126, v128
	v_sub_f16_e64 v154, v132, v130
	v_sub_f16_e64 v126, v128, v126
	v_sub_f16_e64 v156, v130, v132
	v_add_f16_e32 v93, v28, v93
	v_add_f16_e32 v119, v18, v119
	;; [unrolled: 1-line block ×3, first 2 shown]
	v_add_f16_e64 v157, v40, v41
	v_fma_f16 v158, -0.5, v38, v19
	v_fmac_f16_e32 v19, -0.5, v92
	v_fma_f16 v159, 0x3b9c, v123, v42
	v_fmac_f16_e32 v42, 0xbb9c, v123
	v_add_f16_e64 v127, v127, v129
	v_fma_f16 v129, 0xbb9c, v125, v46
	v_fmac_f16_e32 v46, 0x3b9c, v125
	v_add_f16_e64 v38, v131, v96
	v_fma_f16 v131, 0xbb9c, v121, v114
	v_fma_f16 v134, -0.5, v134, v30
	v_fmac_f16_e64 v30, -0.5, v139
	v_add_f16_e64 v139, v95, v140
	v_add_f16_e64 v40, v141, v111
	v_add_f16_e64 v140, v145, v146
	v_add_f16_e64 v141, v148, v149
	v_add_f16_e64 v41, v150, v128
	v_fma_f16 v128, -0.5, v151, v31
	v_add_f16_e32 v92, v25, v24
	v_add_f16_e64 v145, v26, v23
	v_add_f16_e64 v148, v21, v20
	;; [unrolled: 1-line block ×3, first 2 shown]
	v_sub_f16_e32 v118, v96, v122
	v_sub_f16_e64 v135, v29, v97
	v_add_f16_e64 v136, v136, v137
	v_fma_f16 v137, 0x3b9c, v138, v39
	v_fmac_f16_e64 v39, 0xbb9c, v138
	v_fmac_f16_e32 v114, 0x3b9c, v121
	v_sub_f16_e64 v153, v111, v112
	v_fma_f16 v111, -0.5, v142, v16
	v_fmac_f16_e64 v16, -0.5, v147
	v_sub_f16_e64 v146, v25, v26
	v_sub_f16_e64 v147, v24, v23
	v_fmac_f16_e64 v31, -0.5, v155
	v_sub_f16_e64 v149, v22, v21
	v_sub_f16_e64 v150, v17, v20
	v_add_f16_e64 v142, v27, v154
	v_add_f16_e64 v126, v126, v156
	v_sub_f16_e32 v27, v22, v17
	v_sub_f16_e32 v28, v21, v20
	;; [unrolled: 1-line block ×6, first 2 shown]
	v_add_f16_e64 v156, v93, v94
	v_fmac_f16_e64 v159, 0x38b4, v125
	v_fmac_f16_e32 v42, 0xb8b4, v125
	v_fmac_f16_e64 v129, 0x38b4, v123
	v_fmac_f16_e32 v46, 0xb8b4, v123
	v_add_f16_e32 v119, v119, v120
	v_fmac_f16_e64 v131, 0xb8b4, v138
	v_add_f16_e32 v94, v37, v97
	v_fma_f16 v120, 0x3b9c, v117, v158
	v_add_f16_e32 v97, v38, v122
	v_fma_f16 v122, 0xbb9c, v133, v134
	v_add_f16_e64 v123, v41, v130
	v_fma_f16 v38, -0.5, v92, v35
	v_fma_f16 v92, -0.5, v145, v35
	v_fma_f16 v41, -0.5, v148, v36
	v_fma_f16 v93, -0.5, v151, v36
	v_fmac_f16_e64 v137, 0xb8b4, v121
	v_fmac_f16_e32 v39, 0x38b4, v121
	v_fmamk_f16 v121, v118, 0xbb9c, v19
	v_fmac_f16_e32 v19, 0x3b9c, v118
	v_fma_f16 v125, 0x3b9c, v135, v30
	v_fmac_f16_e64 v30, 0xbb9c, v135
	v_fmac_f16_e64 v114, 0x38b4, v138
	;; [unrolled: 1-line block ×4, first 2 shown]
	v_fma_f16 v130, 0x3b9c, v143, v111
	v_add_f16_e64 v138, v146, v147
	v_fma_f16 v147, 0xbb9c, v152, v128
	v_fma_f16 v146, 0xbb9c, v144, v16
	v_fmac_f16_e64 v16, 0x3b9c, v144
	v_add_f16_e64 v37, v149, v150
	v_fma_f16 v150, 0x3b9c, v153, v31
	v_fmac_f16_e64 v31, 0xbb9c, v153
	v_sub_f16_e64 v154, v21, v22
	v_sub_f16_e64 v155, v20, v17
	v_add_f16_e32 v112, v40, v112
	v_add_f16_e32 v40, v95, v96
	v_fmac_f16_e64 v111, 0xbb9c, v143
	v_fmac_f16_e64 v128, 0x3b9c, v152
	v_fmac_f16_e64 v159, 0x34f2, v45
	v_fmac_f16_e32 v42, 0x34f2, v45
	v_fmac_f16_e64 v131, 0x34f2, v115
	v_add_f16_e32 v45, v94, v110
	v_fmac_f16_e32 v120, 0x38b4, v118
	v_add_f16_e32 v110, v97, v124
	v_fmac_f16_e64 v122, 0xb8b4, v135
	v_fmamk_f16 v94, v27, 0xbb9c, v38
	v_fmamk_f16 v95, v28, 0xbb9c, v92
	v_fmac_f16_e32 v92, 0x3b9c, v28
	v_fmamk_f16 v96, v29, 0x3b9c, v41
	v_fmamk_f16 v97, v18, 0x3b9c, v93
	v_fmac_f16_e32 v93, 0xbb9c, v18
	v_fmac_f16_e64 v129, 0x34f2, v113
	v_fmac_f16_e32 v46, 0x34f2, v113
	v_fmac_f16_e64 v137, 0x34f2, v116
	v_fmac_f16_e32 v39, 0x34f2, v116
	v_fmac_f16_e32 v121, 0x38b4, v117
	;; [unrolled: 1-line block ×3, first 2 shown]
	v_fmac_f16_e64 v125, 0xb8b4, v133
	v_fmac_f16_e64 v30, 0x38b4, v133
	v_fmac_f16_e32 v114, 0x34f2, v115
	v_fmac_f16_e64 v158, 0xb8b4, v118
	v_fmac_f16_e64 v134, 0x38b4, v135
	;; [unrolled: 1-line block ×8, first 2 shown]
	v_add_f16_e64 v149, v154, v155
	v_fmac_f16_e64 v111, 0xb8b4, v144
	v_fmac_f16_e64 v128, 0x38b4, v153
	v_pack_b32_f16 v113, v156, v119
	v_fmac_f16_e64 v120, 0x34f2, v157
	v_fmac_f16_e64 v122, 0x34f2, v136
	v_fmac_f16_e32 v94, 0xb8b4, v28
	v_fmac_f16_e32 v95, 0x38b4, v27
	;; [unrolled: 1-line block ×6, first 2 shown]
	v_pack_b32_f16 v115, v159, v131
	v_fmac_f16_e32 v121, 0x34f2, v127
	v_fmac_f16_e32 v19, 0x34f2, v127
	v_fmac_f16_e64 v125, 0x34f2, v139
	v_fmac_f16_e64 v30, 0x34f2, v139
	v_pack_b32_f16 v116, v129, v137
	v_pack_b32_f16 v39, v46, v39
	v_fmac_f16_e64 v158, 0x34f2, v157
	v_fmac_f16_e64 v134, 0x34f2, v136
	v_pack_b32_f16 v42, v42, v114
	v_add_f16_e32 v44, v112, v44
	v_add_f16_e64 v112, v123, v132
	v_fmac_f16_e64 v130, 0x34f2, v140
	v_fmac_f16_e64 v147, 0x34f2, v142
	;; [unrolled: 1-line block ×5, first 2 shown]
	v_fmac_f16_e32 v31, 0x34f2, v126
	v_fmac_f16_e64 v111, 0x34f2, v140
	v_fmac_f16_e64 v128, 0x34f2, v142
	v_pack_b32_f16 v45, v45, v110
	v_fmac_f16_e32 v94, 0x34f2, v40
	v_fmac_f16_e64 v95, 0x34f2, v138
	v_fmac_f16_e64 v92, 0x34f2, v138
	v_fmac_f16_e32 v96, 0x34f2, v37
	v_fmac_f16_e64 v97, 0x34f2, v149
	v_fmac_f16_e64 v93, 0x34f2, v149
	ds_store_2addr_b32 v89, v113, v115 offset1:17
	ds_store_2addr_b32 v89, v116, v39 offset0:34 offset1:51
	ds_store_b32 v89, v42 offset:272
	v_pack_b32_f16 v39, v120, v122
	v_pack_b32_f16 v42, v121, v125
	;; [unrolled: 1-line block ×9, first 2 shown]
	ds_store_2addr_b32 v86, v45, v39 offset1:17
	ds_store_2addr_b32 v86, v42, v19 offset0:34 offset1:51
	ds_store_b32 v86, v30 offset:272
	ds_store_2addr_b32 v85, v44, v46 offset1:17
	ds_store_2addr_b32 v85, v110, v16 offset0:34 offset1:51
	ds_store_b32 v85, v31 offset:272
	s_and_saveexec_b32 s0, vcc_lo
	s_cbranch_execz .LBB0_5
; %bb.4:
	v_add_f16_e32 v22, v36, v22
	v_mul_f16_e32 v16, 0x3b9c, v27
	v_mul_f16_e32 v27, 0x3b9c, v29
	v_add_f16_e32 v26, v35, v26
	v_mul_f16_e32 v19, 0x38b4, v28
	v_add_f16_e32 v21, v22, v21
	v_mul_f16_e32 v18, 0x38b4, v18
	v_sub_f16_e32 v27, v41, v27
	v_add_f16_e32 v25, v26, v25
	v_add_f16_e32 v16, v38, v16
	;; [unrolled: 1-line block ×3, first 2 shown]
	scratch_load_b32 v21, off, off          ; 4-byte Folded Reload
	v_mul_f16_e32 v28, 0x34f2, v40
	v_mul_f16_e32 v22, 0x34f2, v37
	v_sub_f16_e32 v18, v27, v18
	v_add_f16_e32 v24, v25, v24
	v_add_f16_e32 v16, v19, v16
	v_add_f16_e32 v17, v20, v17
	s_delay_alu instid0(VALU_DEP_4) | instskip(NEXT) | instid1(VALU_DEP_4)
	v_add_f16_e32 v18, v22, v18
	v_add_f16_e32 v20, v24, v23
	s_delay_alu instid0(VALU_DEP_4) | instskip(NEXT) | instid1(VALU_DEP_2)
	v_add_f16_e32 v16, v28, v16
	v_pack_b32_f16 v17, v20, v17
	s_delay_alu instid0(VALU_DEP_2) | instskip(SKIP_4) | instid1(VALU_DEP_1)
	v_pack_b32_f16 v16, v16, v18
	v_perm_b32 v18, v97, v95, 0x5040100
	v_perm_b32 v20, v93, v92, 0x5040100
	s_wait_loadcnt 0x0
	v_mad_u16 v21, 0x55, v21, v84
	v_and_b32_e32 v19, 0xffff, v21
	v_perm_b32 v21, v96, v94, 0x5040100
	s_delay_alu instid0(VALU_DEP_2)
	v_lshlrev_b32_e32 v19, 2, v19
	ds_store_2addr_b32 v19, v17, v16 offset1:17
	ds_store_2addr_b32 v19, v18, v20 offset0:34 offset1:51
	ds_store_b32 v19, v21 offset:272
.LBB0_5:
	s_wait_alu 0xfffe
	s_or_b32 exec_lo, exec_lo, s0
	v_lshlrev_b32_e32 v37, 6, v74
	global_wb scope:SCOPE_SE
	s_wait_dscnt 0x0
	s_barrier_signal -1
	s_barrier_wait -1
	global_inv scope:SCOPE_SE
	s_clause 0x1
	global_load_b128 v[20:23], v37, s[10:11] offset:272
	global_load_b128 v[16:19], v37, s[10:11] offset:288
	v_add_nc_u32_e32 v126, 0x400, v47
	v_add_nc_u32_e32 v39, 0x600, v47
	ds_load_2addr_b32 v[28:29], v47 offset0:170 offset1:255
	ds_load_2addr_b32 v[26:27], v126 offset0:84 offset1:169
	;; [unrolled: 1-line block ×3, first 2 shown]
	v_add_nc_u32_e32 v44, 0x800, v47
	v_add_nc_u32_e32 v127, 0xe00, v47
	;; [unrolled: 1-line block ×3, first 2 shown]
	s_add_nc_u64 s[0:1], s[8:9], 0x1694
	ds_load_2addr_b32 v[35:36], v44 offset0:168 offset1:253
	s_wait_dscnt 0x3
	v_lshrrev_b32_e32 v38, 16, v28
	v_lshrrev_b32_e32 v41, 16, v29
	s_wait_dscnt 0x1
	v_lshrrev_b32_e32 v46, 16, v24
	v_lshrrev_b32_e32 v42, 16, v26
	;; [unrolled: 1-line block ×4, first 2 shown]
	s_wait_dscnt 0x0
	v_lshrrev_b32_e32 v125, 16, v35
	v_lshrrev_b32_e32 v131, 16, v36
	s_wait_loadcnt 0x1
	v_lshrrev_b32_e32 v124, 16, v21
	v_lshrrev_b32_e32 v123, 16, v22
	s_wait_loadcnt 0x0
	v_lshrrev_b32_e32 v115, 16, v17
	v_lshrrev_b32_e32 v121, 16, v23
	;; [unrolled: 1-line block ×3, first 2 shown]
	v_mul_f16_e32 v30, v38, v124
	v_lshrrev_b32_e32 v110, 16, v18
	v_mul_f16_e64 v129, v28, v124
	v_mul_f16_e32 v31, v41, v123
	v_lshrrev_b32_e32 v112, 16, v19
	v_fma_f16 v130, v28, v21, -v30
	v_mul_f16_e32 v28, v46, v115
	v_mul_f16_e64 v133, v29, v123
	v_mul_f16_e32 v40, v42, v121
	v_mul_f16_e32 v111, v45, v120
	v_fma_f16 v134, v29, v22, -v31
	v_mul_f16_e32 v29, v122, v110
	v_mul_f16_e64 v158, v24, v115
	v_fma_f16 v159, v24, v17, -v28
	v_mul_f16_e32 v24, v125, v112
	v_mul_f16_e64 v139, v26, v121
	v_fma_f16 v140, v26, v23, -v40
	v_fma_f16 v148, v27, v16, -v111
	v_mul_f16_e64 v146, v27, v120
	v_fma_f16 v162, v25, v18, -v29
	v_mul_f16_e64 v161, v25, v110
	v_fma_f16 v171, v35, v19, -v24
	s_clause 0x1
	global_load_b128 v[28:31], v37, s[10:11] offset:304
	global_load_b128 v[24:27], v37, s[10:11] offset:320
	v_add_nc_u32_e32 v40, 0xc00, v47
	v_mul_f16_e64 v168, v35, v112
	v_fmac_f16_e64 v161, v122, v18
	v_fmac_f16_e64 v129, v38, v21
	;; [unrolled: 1-line block ×5, first 2 shown]
	v_lshrrev_b32_e32 v125, 16, v20
	v_fmac_f16_e64 v146, v45, v16
	v_fmac_f16_e64 v158, v46, v17
	s_wait_loadcnt 0x1
	v_lshrrev_b32_e32 v113, 16, v28
	v_lshrrev_b32_e32 v119, 16, v29
	;; [unrolled: 1-line block ×4, first 2 shown]
	s_wait_loadcnt 0x0
	v_lshrrev_b32_e32 v117, 16, v24
	v_mul_f16_e64 v37, v131, v113
	v_mul_f16_e64 v169, v36, v113
	v_lshrrev_b32_e32 v118, 16, v25
	v_lshrrev_b32_e32 v122, 16, v27
	s_delay_alu instid0(VALU_DEP_4)
	v_fma_f16 v179, v36, v28, -v37
	ds_load_2addr_b32 v[35:36], v40 offset0:82 offset1:167
	v_fmac_f16_e64 v169, v131, v28
	s_wait_dscnt 0x0
	v_lshrrev_b32_e32 v37, 16, v35
	v_lshrrev_b32_e32 v132, 16, v36
	v_mul_f16_e64 v172, v35, v119
	v_mul_f16_e64 v166, v36, v114
	s_delay_alu instid0(VALU_DEP_4) | instskip(NEXT) | instid1(VALU_DEP_3)
	v_mul_f16_e32 v111, v37, v119
	v_fmac_f16_e64 v172, v37, v29
	s_delay_alu instid0(VALU_DEP_3) | instskip(NEXT) | instid1(VALU_DEP_3)
	v_fmac_f16_e64 v166, v132, v30
	v_fma_f16 v164, v35, v29, -v111
	v_mul_f16_e64 v111, v132, v114
	s_delay_alu instid0(VALU_DEP_1)
	v_fma_f16 v165, v36, v30, -v111
	ds_load_2addr_b32 v[35:36], v127 offset0:124 offset1:209
	s_wait_dscnt 0x0
	v_lshrrev_b32_e32 v135, 16, v35
	v_lshrrev_b32_e32 v136, 16, v36
	v_mul_f16_e64 v180, v35, v116
	v_mul_f16_e64 v175, v36, v117
	s_delay_alu instid0(VALU_DEP_4) | instskip(NEXT) | instid1(VALU_DEP_3)
	v_mul_f16_e64 v111, v135, v116
	v_fmac_f16_e64 v180, v135, v31
	s_delay_alu instid0(VALU_DEP_3) | instskip(NEXT) | instid1(VALU_DEP_3)
	v_fmac_f16_e64 v175, v136, v24
	v_fma_f16 v173, v35, v31, -v111
	v_mul_f16_e64 v111, v136, v117
	s_delay_alu instid0(VALU_DEP_1)
	v_fma_f16 v174, v36, v24, -v111
	ds_load_2addr_b32 v[35:36], v128 offset0:166 offset1:251
	s_wait_dscnt 0x0
	v_lshrrev_b32_e32 v137, 16, v35
	v_mul_f16_e64 v181, v35, v118
	v_lshrrev_b32_e32 v138, 16, v36
	s_delay_alu instid0(VALU_DEP_3) | instskip(NEXT) | instid1(VALU_DEP_3)
	v_mul_f16_e64 v111, v137, v118
	v_fmac_f16_e64 v181, v137, v25
	s_delay_alu instid0(VALU_DEP_2) | instskip(SKIP_3) | instid1(VALU_DEP_2)
	v_fma_f16 v178, v35, v25, -v111
	ds_load_b32 v35, v47 offset:5440
	v_lshrrev_b32_e32 v111, 16, v26
	v_sub_f16_e64 v154, v134, v178
	v_mul_f16_e64 v141, v138, v111
	v_mul_f16_e64 v170, v36, v111
	s_delay_alu instid0(VALU_DEP_2) | instskip(NEXT) | instid1(VALU_DEP_2)
	v_fma_f16 v167, v36, v26, -v141
	v_fmac_f16_e64 v170, v138, v26
	s_delay_alu instid0(VALU_DEP_2) | instskip(NEXT) | instid1(VALU_DEP_2)
	v_sub_f16_e64 v152, v130, v167
	v_sub_f16_e64 v149, v129, v170
	s_wait_dscnt 0x0
	v_lshrrev_b32_e32 v36, 16, v35
	v_mul_f16_e64 v177, v35, v122
	v_mul_f16_e64 v217, 0x3836, v152
	;; [unrolled: 1-line block ×3, first 2 shown]
	s_delay_alu instid0(VALU_DEP_4) | instskip(NEXT) | instid1(VALU_DEP_4)
	v_mul_f16_e32 v37, v36, v122
	v_fmac_f16_e64 v177, v36, v27
	s_delay_alu instid0(VALU_DEP_2) | instskip(SKIP_4) | instid1(VALU_DEP_1)
	v_fma_f16 v176, v35, v27, -v37
	ds_load_2addr_b32 v[37:38], v47 offset1:85
	s_wait_dscnt 0x0
	v_lshrrev_b32_e32 v35, 16, v38
	v_mul_f16_e32 v41, v38, v125
	v_fmac_f16_e32 v41, v35, v20
	v_mul_f16_e32 v35, v35, v125
	s_delay_alu instid0(VALU_DEP_1) | instskip(NEXT) | instid1(VALU_DEP_3)
	v_fma_f16 v42, v38, v20, -v35
	v_sub_f16_e64 v35, v41, v177
	s_delay_alu instid0(VALU_DEP_2) | instskip(NEXT) | instid1(VALU_DEP_2)
	v_sub_f16_e64 v151, v42, v176
	v_mul_f16_e32 v36, 0xb5c8, v35
	v_mul_f16_e32 v38, 0xb964, v35
	;; [unrolled: 1-line block ×4, first 2 shown]
	v_mul_f16_e64 v135, 0xbbb2, v35
	v_mul_f16_e64 v136, 0xba62, v35
	;; [unrolled: 1-line block ×4, first 2 shown]
	v_add_f16_e64 v35, v42, v176
	s_delay_alu instid0(VALU_DEP_1)
	v_fma_f16 v131, v35, 0x3b76, -v36
	v_fmac_f16_e32 v36, 0x3b76, v35
	v_fma_f16 v132, v35, 0x39e9, -v38
	v_fmac_f16_e32 v38, 0x39e9, v35
	;; [unrolled: 2-line block ×4, first 2 shown]
	v_fma_f16 v142, v35, 0xb461, -v135
	v_fmac_f16_e64 v135, 0xb461, v35
	v_fma_f16 v144, v35, 0xb8d2, -v136
	v_fmac_f16_e64 v136, 0xb8d2, v35
	;; [unrolled: 2-line block ×4, first 2 shown]
	v_add_f16_e64 v150, v37, v131
	v_add_f16_e32 v35, v37, v36
	v_add_f16_e64 v185, v37, v132
	v_add_f16_e64 v132, v37, v38
	;; [unrolled: 1-line block ×14, first 2 shown]
	v_lshrrev_b32_e32 v36, 16, v37
	v_add_f16_e32 v45, v37, v42
	v_add_f16_e64 v38, v130, v167
	v_mul_f16_e64 v37, 0xb964, v149
	v_add_f16_e64 v42, v129, v170
	s_delay_alu instid0(VALU_DEP_4) | instskip(SKIP_1) | instid1(VALU_DEP_4)
	v_add_f16_e64 v143, v45, v130
	v_mul_f16_e64 v45, 0xb5c8, v151
	v_fma_f16 v46, v38, 0x39e9, -v37
	s_delay_alu instid0(VALU_DEP_4)
	v_fma_f16 v218, 0xbacd, v42, v217
	v_fma_f16 v246, 0x3722, v42, v245
	v_add_f16_e64 v143, v143, v134
	v_fmac_f16_e32 v37, 0x39e9, v38
	v_add_f16_e64 v135, v46, v150
	v_add_f16_e32 v46, v36, v41
	v_add_f16_e64 v41, v41, v177
	v_sub_f16_e64 v150, v133, v181
	v_add_f16_e64 v186, v143, v140
	v_add_f16_e32 v35, v37, v35
	v_add_f16_e64 v136, v46, v129
	v_fmamk_f16 v46, v41, 0x3b76, v45
	v_mul_f16_e64 v129, 0xb964, v152
	v_add_f16_e64 v186, v186, v148
	s_delay_alu instid0(VALU_DEP_4) | instskip(NEXT) | instid1(VALU_DEP_4)
	v_add_f16_e64 v182, v136, v133
	v_add_f16_e32 v46, v36, v46
	s_delay_alu instid0(VALU_DEP_4)
	v_fma_f16 v130, 0x39e9, v42, v129
	v_mul_f16_e64 v136, 0xbb29, v154
	v_add_f16_e64 v186, v186, v159
	v_add_f16_e64 v187, v182, v139
	v_sub_f16_e64 v182, v146, v180
	v_add_f16_e64 v144, v130, v46
	v_add_f16_e64 v130, v134, v178
	v_mul_f16_e64 v46, 0xbb29, v150
	v_add_f16_e64 v134, v133, v181
	v_add_f16_e64 v190, v187, v146
	;; [unrolled: 1-line block ×4, first 2 shown]
	v_fma_f16 v153, v130, 0x3722, -v46
	v_fma_f16 v133, 0x3722, v134, v136
	v_fmac_f16_e64 v46, 0x3722, v130
	s_delay_alu instid0(VALU_DEP_3) | instskip(SKIP_1) | instid1(VALU_DEP_4)
	v_add_f16_e64 v157, v153, v135
	v_sub_f16_e64 v153, v139, v175
	v_add_f16_e64 v144, v133, v144
	v_add_f16_e64 v135, v140, v174
	;; [unrolled: 1-line block ×3, first 2 shown]
	v_add_f16_e32 v35, v46, v35
	v_mul_f16_e64 v133, 0xbbf7, v153
	s_delay_alu instid0(VALU_DEP_1) | instskip(SKIP_1) | instid1(VALU_DEP_2)
	v_fma_f16 v183, v135, 0x2de8, -v133
	v_fmac_f16_e64 v133, 0x2de8, v135
	v_add_f16_e64 v183, v183, v157
	v_sub_f16_e64 v157, v140, v174
	s_delay_alu instid0(VALU_DEP_3) | instskip(NEXT) | instid1(VALU_DEP_2)
	v_add_f16_e64 v35, v133, v35
	v_mul_f16_e64 v140, 0xbbf7, v157
	s_delay_alu instid0(VALU_DEP_1) | instskip(SKIP_1) | instid1(VALU_DEP_2)
	v_fma_f16 v143, 0x2de8, v139, v140
	v_fma_f16 v37, v139, 0x2de8, -v140
	v_add_f16_e64 v188, v143, v144
	v_add_f16_e64 v144, v148, v173
	v_mul_f16_e64 v143, 0xbbb2, v182
	s_delay_alu instid0(VALU_DEP_1) | instskip(SKIP_1) | instid1(VALU_DEP_2)
	v_fma_f16 v189, v144, 0xb461, -v143
	v_fmac_f16_e64 v143, 0xb461, v144
	v_add_f16_e64 v189, v189, v183
	v_sub_f16_e64 v183, v148, v173
	s_delay_alu instid0(VALU_DEP_3) | instskip(NEXT) | instid1(VALU_DEP_2)
	v_add_f16_e64 v35, v143, v35
	v_mul_f16_e64 v148, 0xbbb2, v183
	s_delay_alu instid0(VALU_DEP_1) | instskip(NEXT) | instid1(VALU_DEP_1)
	v_fma_f16 v187, 0xb461, v146, v148
	v_add_f16_e64 v191, v187, v188
	v_add_f16_e64 v188, v186, v171
	;; [unrolled: 1-line block ×3, first 2 shown]
	v_sub_f16_e64 v187, v171, v179
	v_add_f16_e64 v171, v190, v158
	v_sub_f16_e64 v190, v158, v166
	v_add_f16_e64 v192, v188, v179
	;; [unrolled: 2-line block ×3, first 2 shown]
	v_add_f16_e64 v171, v171, v161
	s_delay_alu instid0(VALU_DEP_1) | instskip(SKIP_1) | instid1(VALU_DEP_2)
	v_add_f16_e64 v171, v171, v168
	v_add_f16_e64 v168, v168, v169
	v_add_f16_e64 v193, v171, v169
	v_add_f16_e64 v171, v159, v165
	v_mul_f16_e64 v169, 0xba62, v190
	s_delay_alu instid0(VALU_DEP_1) | instskip(SKIP_1) | instid1(VALU_DEP_2)
	v_fma_f16 v188, v171, 0xb8d2, -v169
	v_fmac_f16_e64 v169, 0xb8d2, v171
	v_add_f16_e64 v194, v188, v189
	v_sub_f16_e64 v188, v162, v164
	v_add_f16_e64 v162, v162, v164
	v_add_f16_e64 v164, v192, v164
	v_sub_f16_e64 v189, v161, v172
	v_add_f16_e64 v161, v161, v172
	;; [unrolled: 3-line block ×3, first 2 shown]
	v_add_f16_e64 v35, v169, v35
	s_delay_alu instid0(VALU_DEP_4) | instskip(NEXT) | instid1(VALU_DEP_4)
	v_add_f16_e64 v165, v172, v166
	v_mul_f16_e64 v159, 0xba62, v192
	s_delay_alu instid0(VALU_DEP_4) | instskip(SKIP_1) | instid1(VALU_DEP_4)
	v_add_f16_e64 v172, v164, v173
	v_mul_f16_e64 v164, 0xb836, v189
	v_add_f16_e64 v165, v165, v180
	s_delay_alu instid0(VALU_DEP_4) | instskip(NEXT) | instid1(VALU_DEP_4)
	v_fma_f16 v166, 0xb8d2, v158, v159
	v_add_f16_e64 v172, v172, v174
	s_delay_alu instid0(VALU_DEP_4)
	v_fma_f16 v173, v162, 0xbacd, -v164
	v_fmac_f16_e64 v164, 0xbacd, v162
	v_add_f16_e64 v174, v165, v175
	v_mul_f16_e64 v165, 0xb836, v188
	v_add_f16_e64 v166, v166, v191
	v_add_f16_e64 v172, v172, v178
	;; [unrolled: 1-line block ×4, first 2 shown]
	v_fma_f16 v175, 0xbacd, v161, v165
	v_mul_f16_e64 v181, 0xba62, v152
	v_add_f16_e64 v172, v172, v167
	v_mul_f16_e64 v167, 0xb1e1, v187
	v_add_f16_e64 v170, v174, v170
	v_add_f16_e64 v175, v175, v166
	v_mul_f16_e64 v166, 0xb1e1, v179
	v_add_f16_e64 v172, v172, v176
	v_fma_f16 v174, 0xbbdd, v168, v167
	v_add_f16_e64 v170, v170, v177
	v_add_f16_e64 v35, v164, v35
	v_fma_f16 v178, v186, 0xbbdd, -v166
	v_fmac_f16_e64 v166, 0xbbdd, v186
	v_add_f16_e64 v174, v174, v175
	v_pack_b32_f16 v170, v172, v170
	v_mul_f16_e64 v175, 0xbbf7, v152
	v_add_f16_e64 v173, v178, v173
	v_mul_f16_e64 v178, 0xbb29, v151
	v_add_f16_e64 v35, v166, v35
	s_delay_alu instid0(VALU_DEP_4) | instskip(NEXT) | instid1(VALU_DEP_4)
	v_fma_f16 v176, 0x2de8, v42, v175
	v_pack_b32_f16 v173, v173, v174
	s_delay_alu instid0(VALU_DEP_4) | instskip(SKIP_4) | instid1(VALU_DEP_3)
	v_fma_f16 v180, 0x3722, v41, v178
	ds_store_2addr_b32 v47, v170, v173 offset1:85
	v_mul_f16_e64 v173, 0xb964, v151
	v_mul_f16_e64 v170, 0xbbf7, v149
	v_add_f16_e64 v180, v36, v180
	v_fma_f16 v174, 0x39e9, v41, v173
	s_delay_alu instid0(VALU_DEP_3) | instskip(SKIP_1) | instid1(VALU_DEP_3)
	v_fma_f16 v172, v38, 0x2de8, -v170
	v_fmac_f16_e64 v170, 0x2de8, v38
	v_add_f16_e64 v174, v36, v174
	s_delay_alu instid0(VALU_DEP_3) | instskip(NEXT) | instid1(VALU_DEP_2)
	v_add_f16_e64 v172, v172, v185
	v_add_f16_e64 v174, v176, v174
	v_mul_f16_e64 v176, 0xba62, v149
	s_delay_alu instid0(VALU_DEP_1) | instskip(SKIP_1) | instid1(VALU_DEP_2)
	v_fma_f16 v177, v38, 0xb8d2, -v176
	v_fmac_f16_e64 v176, 0xb8d2, v38
	v_add_f16_e64 v177, v177, v184
	v_fma_f16 v184, 0xb8d2, v42, v181
	s_delay_alu instid0(VALU_DEP_1) | instskip(SKIP_1) | instid1(VALU_DEP_1)
	v_add_f16_e64 v180, v184, v180
	v_mul_f16_e64 v184, 0xba62, v150
	v_fma_f16 v185, v130, 0xb8d2, -v184
	v_fmac_f16_e64 v184, 0xb8d2, v130
	s_delay_alu instid0(VALU_DEP_2) | instskip(SKIP_1) | instid1(VALU_DEP_1)
	v_add_f16_e64 v172, v185, v172
	v_mul_f16_e64 v185, 0xba62, v154
	v_fma_f16 v191, 0xb8d2, v134, v185
	s_delay_alu instid0(VALU_DEP_1) | instskip(SKIP_1) | instid1(VALU_DEP_1)
	v_add_f16_e64 v174, v191, v174
	v_mul_f16_e64 v191, 0x31e1, v150
	v_fma_f16 v193, v130, 0xbbdd, -v191
	v_fmac_f16_e64 v191, 0xbbdd, v130
	s_delay_alu instid0(VALU_DEP_2) | instskip(SKIP_1) | instid1(VALU_DEP_1)
	v_add_f16_e64 v177, v193, v177
	v_mul_f16_e64 v193, 0x31e1, v154
	;; [unrolled: 9-line block ×11, first 2 shown]
	v_fma_f16 v212, 0x3b76, v168, v211
	s_delay_alu instid0(VALU_DEP_1) | instskip(SKIP_1) | instid1(VALU_DEP_2)
	v_add_f16_e64 v174, v212, v174
	v_mul_f16_e64 v212, 0xb836, v179
	v_pack_b32_f16 v172, v172, v174
	s_delay_alu instid0(VALU_DEP_2) | instskip(SKIP_1) | instid1(VALU_DEP_2)
	v_fma_f16 v213, v186, 0xbacd, -v212
	v_fmac_f16_e64 v212, 0xbacd, v186
	v_add_f16_e64 v177, v213, v177
	v_mul_f16_e64 v213, 0xb836, v187
	s_delay_alu instid0(VALU_DEP_1) | instskip(NEXT) | instid1(VALU_DEP_1)
	v_fma_f16 v214, 0xbacd, v168, v213
	v_add_f16_e64 v180, v214, v180
	s_delay_alu instid0(VALU_DEP_1) | instskip(SKIP_4) | instid1(VALU_DEP_2)
	v_pack_b32_f16 v174, v177, v180
	v_mul_f16_e64 v180, 0xb1e1, v152
	ds_store_2addr_b32 v47, v172, v174 offset0:170 offset1:255
	v_mul_f16_e64 v172, 0xb1e1, v149
	v_fma_f16 v214, 0xbbdd, v42, v180
	v_fma_f16 v174, v38, 0xbbdd, -v172
	v_fmac_f16_e64 v172, 0xbbdd, v38
	s_delay_alu instid0(VALU_DEP_2) | instskip(SKIP_1) | instid1(VALU_DEP_1)
	v_add_f16_e64 v163, v174, v163
	v_mul_f16_e64 v174, 0xbbf7, v151
	v_fma_f16 v177, 0x2de8, v41, v174
	s_delay_alu instid0(VALU_DEP_1) | instskip(NEXT) | instid1(VALU_DEP_1)
	v_add_f16_e64 v177, v36, v177
	v_add_f16_e64 v177, v214, v177
	v_mul_f16_e64 v214, 0x3836, v149
	s_delay_alu instid0(VALU_DEP_1) | instskip(SKIP_1) | instid1(VALU_DEP_2)
	v_fma_f16 v215, v38, 0xbacd, -v214
	v_fmac_f16_e64 v214, 0xbacd, v38
	v_add_f16_e64 v160, v215, v160
	v_mul_f16_e64 v215, 0xbbb2, v151
	s_delay_alu instid0(VALU_DEP_1) | instskip(NEXT) | instid1(VALU_DEP_1)
	v_fma_f16 v216, 0xb461, v41, v215
	v_add_f16_e64 v216, v36, v216
	s_delay_alu instid0(VALU_DEP_1) | instskip(SKIP_1) | instid1(VALU_DEP_1)
	v_add_f16_e64 v216, v218, v216
	v_mul_f16_e64 v218, 0x3bb2, v150
	v_fma_f16 v219, v130, 0xb461, -v218
	v_fmac_f16_e64 v218, 0xb461, v130
	s_delay_alu instid0(VALU_DEP_2) | instskip(SKIP_1) | instid1(VALU_DEP_1)
	v_add_f16_e64 v163, v219, v163
	v_mul_f16_e64 v219, 0x3bb2, v154
	v_fma_f16 v220, 0xb461, v134, v219
	s_delay_alu instid0(VALU_DEP_1) | instskip(SKIP_1) | instid1(VALU_DEP_1)
	v_add_f16_e64 v177, v220, v177
	v_mul_f16_e64 v220, 0x3964, v150
	v_fma_f16 v221, v130, 0x39e9, -v220
	v_fmac_f16_e64 v220, 0x39e9, v130
	s_delay_alu instid0(VALU_DEP_2) | instskip(SKIP_1) | instid1(VALU_DEP_1)
	v_add_f16_e64 v160, v221, v160
	v_mul_f16_e64 v221, 0x3964, v154
	v_fma_f16 v222, 0x39e9, v134, v221
	;; [unrolled: 9-line block ×11, first 2 shown]
	s_delay_alu instid0(VALU_DEP_1) | instskip(SKIP_1) | instid1(VALU_DEP_2)
	v_add_f16_e64 v177, v240, v177
	v_mul_f16_e64 v240, 0xba62, v179
	v_pack_b32_f16 v163, v163, v177
	s_delay_alu instid0(VALU_DEP_2) | instskip(SKIP_1) | instid1(VALU_DEP_2)
	v_fma_f16 v241, v186, 0xb8d2, -v240
	v_fmac_f16_e64 v240, 0xb8d2, v186
	v_add_f16_e64 v160, v241, v160
	v_mul_f16_e64 v241, 0xba62, v187
	s_delay_alu instid0(VALU_DEP_1) | instskip(NEXT) | instid1(VALU_DEP_1)
	v_fma_f16 v242, 0xb8d2, v168, v241
	v_add_f16_e64 v216, v242, v216
	s_delay_alu instid0(VALU_DEP_1) | instskip(SKIP_4) | instid1(VALU_DEP_2)
	v_pack_b32_f16 v160, v160, v216
	v_mul_f16_e64 v216, 0x3bb2, v152
	ds_store_2addr_b32 v126, v163, v160 offset0:84 offset1:169
	v_mul_f16_e64 v160, 0x3bb2, v149
	v_fma_f16 v242, 0xb461, v42, v216
	v_fma_f16 v163, v38, 0xb461, -v160
	v_fmac_f16_e64 v160, 0xb461, v38
	s_delay_alu instid0(VALU_DEP_2) | instskip(SKIP_1) | instid1(VALU_DEP_1)
	v_add_f16_e64 v156, v163, v156
	v_mul_f16_e64 v163, 0xba62, v151
	v_fma_f16 v177, 0xb8d2, v41, v163
	s_delay_alu instid0(VALU_DEP_1) | instskip(NEXT) | instid1(VALU_DEP_1)
	v_add_f16_e64 v177, v36, v177
	v_add_f16_e64 v177, v242, v177
	v_mul_f16_e64 v242, 0x3b29, v149
	s_delay_alu instid0(VALU_DEP_1) | instskip(SKIP_1) | instid1(VALU_DEP_2)
	v_fma_f16 v243, v38, 0x3722, -v242
	v_fmac_f16_e64 v242, 0x3722, v38
	v_add_f16_e64 v155, v243, v155
	v_mul_f16_e64 v243, 0xb836, v151
	s_delay_alu instid0(VALU_DEP_1) | instskip(NEXT) | instid1(VALU_DEP_1)
	v_fma_f16 v244, 0xbacd, v41, v243
	v_add_f16_e64 v244, v36, v244
	s_delay_alu instid0(VALU_DEP_1) | instskip(SKIP_1) | instid1(VALU_DEP_1)
	v_add_f16_e64 v244, v246, v244
	v_mul_f16_e64 v246, 0xb5c8, v150
	v_fma_f16 v247, v130, 0x3b76, -v246
	v_fmac_f16_e64 v246, 0x3b76, v130
	s_delay_alu instid0(VALU_DEP_2) | instskip(SKIP_1) | instid1(VALU_DEP_1)
	v_add_f16_e64 v156, v247, v156
	v_mul_f16_e64 v247, 0xb5c8, v154
	v_fma_f16 v248, 0x3b76, v134, v247
	s_delay_alu instid0(VALU_DEP_1) | instskip(SKIP_1) | instid1(VALU_DEP_1)
	v_add_f16_e64 v177, v248, v177
	v_mul_f16_e64 v248, 0xbbf7, v150
	v_fma_f16 v249, v130, 0x2de8, -v248
	v_fmac_f16_e64 v248, 0x2de8, v130
	s_delay_alu instid0(VALU_DEP_2) | instskip(SKIP_1) | instid1(VALU_DEP_1)
	v_add_f16_e64 v155, v249, v155
	v_mul_f16_e64 v249, 0xbbf7, v154
	v_fma_f16 v250, 0x2de8, v134, v249
	;; [unrolled: 9-line block ×7, first 2 shown]
	s_delay_alu instid0(VALU_DEP_1) | instskip(SKIP_1) | instid1(VALU_DEP_1)
	v_add_f16_e32 v50, v57, v50
	v_mul_f16_e64 v57, 0xb1e1, v190
	v_fma_f16 v60, v171, 0xbbdd, -v57
	v_fmac_f16_e64 v57, 0xbbdd, v171
	s_delay_alu instid0(VALU_DEP_2) | instskip(SKIP_1) | instid1(VALU_DEP_1)
	v_add_f16_e32 v51, v60, v51
	v_mul_f16_e64 v60, 0xb1e1, v192
	v_fma_f16 v62, 0xbbdd, v158, v60
	s_delay_alu instid0(VALU_DEP_1) | instskip(SKIP_1) | instid1(VALU_DEP_1)
	v_add_f16_e32 v53, v62, v53
	v_mul_f16_e64 v62, 0xb1e1, v189
	v_fma_f16 v64, v162, 0xbbdd, -v62
	v_fmac_f16_e64 v62, 0xbbdd, v162
	s_delay_alu instid0(VALU_DEP_2) | instskip(SKIP_1) | instid1(VALU_DEP_1)
	v_add_f16_e32 v55, v64, v55
	v_mul_f16_e64 v64, 0xb1e1, v188
	v_fma_f16 v66, 0xbbdd, v161, v64
	;; [unrolled: 9-line block ×4, first 2 shown]
	s_delay_alu instid0(VALU_DEP_1) | instskip(SKIP_1) | instid1(VALU_DEP_2)
	v_add_f16_e32 v50, v83, v50
	v_mul_f16_e64 v83, 0xbbb2, v179
	v_pack_b32_f16 v50, v55, v50
	s_delay_alu instid0(VALU_DEP_2) | instskip(SKIP_2) | instid1(VALU_DEP_3)
	v_fma_f16 v75, v186, 0xb461, -v83
	v_mul_f16_e64 v55, 0x35c8, v152
	v_fmac_f16_e64 v83, 0xb461, v186
	v_add_f16_e32 v51, v75, v51
	v_mul_f16_e64 v75, 0xbbb2, v187
	s_delay_alu instid0(VALU_DEP_1) | instskip(NEXT) | instid1(VALU_DEP_1)
	v_fma_f16 v77, 0xb461, v168, v75
	v_add_f16_e32 v53, v77, v53
	s_delay_alu instid0(VALU_DEP_1)
	v_pack_b32_f16 v51, v51, v53
	v_mul_f16_e64 v53, 0xb1e1, v151
	ds_store_2addr_b32 v39, v50, v51 offset0:126 offset1:211
	v_mul_f16_e64 v50, 0x35c8, v149
	v_fmamk_f16 v77, v41, 0xbbdd, v53
	v_fma_f16 v53, v41, 0xbbdd, -v53
	s_delay_alu instid0(VALU_DEP_3) | instskip(SKIP_1) | instid1(VALU_DEP_3)
	v_fma_f16 v51, v38, 0x3b76, -v50
	v_fmac_f16_e32 v50, 0x3b76, v38
	v_add_f16_e32 v53, v36, v53
	v_add_f16_e32 v77, v36, v77
	v_fma_f16 v38, v42, 0x39e9, -v129
	v_add_f16_e64 v51, v51, v147
	v_fma_f16 v147, 0x3b76, v42, v55
	v_fma_f16 v55, v42, 0x3b76, -v55
	v_add_f16_e64 v50, v50, v145
	s_delay_alu instid0(VALU_DEP_3) | instskip(NEXT) | instid1(VALU_DEP_3)
	v_add_f16_e64 v77, v147, v77
	v_add_f16_e32 v53, v55, v53
	v_mul_f16_e64 v55, 0xb836, v150
	s_delay_alu instid0(VALU_DEP_1) | instskip(SKIP_1) | instid1(VALU_DEP_2)
	v_fma_f16 v145, v130, 0xbacd, -v55
	v_fmac_f16_e64 v55, 0xbacd, v130
	v_add_f16_e64 v51, v145, v51
	v_mul_f16_e64 v145, 0xb836, v154
	s_delay_alu instid0(VALU_DEP_3) | instskip(NEXT) | instid1(VALU_DEP_2)
	v_add_f16_e32 v50, v55, v50
	v_fma_f16 v55, v134, 0xbacd, -v145
	v_fma_f16 v147, 0xbacd, v134, v145
	s_delay_alu instid0(VALU_DEP_2) | instskip(SKIP_1) | instid1(VALU_DEP_3)
	v_add_f16_e32 v53, v55, v53
	v_mul_f16_e64 v55, 0x3964, v153
	v_add_f16_e64 v77, v147, v77
	s_delay_alu instid0(VALU_DEP_2) | instskip(SKIP_1) | instid1(VALU_DEP_2)
	v_fma_f16 v145, v135, 0x39e9, -v55
	v_fmac_f16_e64 v55, 0x39e9, v135
	v_add_f16_e64 v51, v145, v51
	v_mul_f16_e64 v145, 0x3964, v157
	s_delay_alu instid0(VALU_DEP_3) | instskip(NEXT) | instid1(VALU_DEP_2)
	v_add_f16_e32 v50, v55, v50
	v_fma_f16 v55, v139, 0x39e9, -v145
	v_fma_f16 v147, 0x39e9, v139, v145
	s_delay_alu instid0(VALU_DEP_2) | instskip(SKIP_1) | instid1(VALU_DEP_3)
	v_add_f16_e32 v53, v55, v53
	v_mul_f16_e64 v55, 0xba62, v182
	v_add_f16_e64 v77, v147, v77
	s_delay_alu instid0(VALU_DEP_2) | instskip(SKIP_1) | instid1(VALU_DEP_2)
	;; [unrolled: 13-line block ×5, first 2 shown]
	v_fma_f16 v145, v186, 0x2de8, -v55
	v_fmac_f16_e64 v55, 0x2de8, v186
	v_add_f16_e64 v51, v145, v51
	v_mul_f16_e64 v145, 0x3bf7, v187
	s_delay_alu instid0(VALU_DEP_3) | instskip(NEXT) | instid1(VALU_DEP_2)
	v_add_f16_e32 v50, v55, v50
	v_fma_f16 v147, 0x2de8, v168, v145
	v_fma_f16 v55, v168, 0x2de8, -v145
	s_delay_alu instid0(VALU_DEP_2) | instskip(NEXT) | instid1(VALU_DEP_2)
	v_add_f16_e64 v77, v147, v77
	v_add_f16_e32 v53, v55, v53
	v_fma_f16 v55, v41, 0xbacd, -v243
	s_delay_alu instid0(VALU_DEP_3) | instskip(NEXT) | instid1(VALU_DEP_3)
	v_pack_b32_f16 v51, v51, v77
	v_pack_b32_f16 v50, v50, v53
	v_fma_f16 v53, v42, 0xb461, -v216
	v_fma_f16 v77, v42, 0x3722, -v245
	v_add_f16_e32 v55, v36, v55
	ds_store_2addr_b32 v44, v51, v50 offset0:168 offset1:253
	v_fma_f16 v51, v41, 0xb8d2, -v163
	v_add_f16_e64 v50, v160, v142
	v_add_f16_e32 v55, v77, v55
	v_fma_f16 v77, v134, 0x3b76, -v247
	s_delay_alu instid0(VALU_DEP_4) | instskip(NEXT) | instid1(VALU_DEP_4)
	v_add_f16_e32 v51, v36, v51
	v_add_f16_e64 v50, v246, v50
	s_delay_alu instid0(VALU_DEP_2) | instskip(SKIP_1) | instid1(VALU_DEP_3)
	v_add_f16_e32 v51, v53, v51
	v_add_f16_e64 v53, v242, v141
	v_add_f16_e64 v50, v250, v50
	s_delay_alu instid0(VALU_DEP_3) | instskip(SKIP_1) | instid1(VALU_DEP_4)
	v_add_f16_e32 v51, v77, v51
	v_fma_f16 v77, v134, 0x2de8, -v249
	v_add_f16_e64 v53, v248, v53
	s_delay_alu instid0(VALU_DEP_4) | instskip(NEXT) | instid1(VALU_DEP_3)
	v_add_f16_e64 v50, v254, v50
	v_add_f16_e32 v55, v77, v55
	v_fma_f16 v77, v139, 0xbacd, -v251
	s_delay_alu instid0(VALU_DEP_4) | instskip(NEXT) | instid1(VALU_DEP_4)
	v_add_f16_e64 v53, v252, v53
	v_add_f16_e64 v50, v244, v50
	s_delay_alu instid0(VALU_DEP_3) | instskip(SKIP_1) | instid1(VALU_DEP_4)
	v_add_f16_e32 v51, v77, v51
	v_fma_f16 v77, v139, 0xb8d2, -v253
	v_add_f16_e64 v53, v177, v53
	s_delay_alu instid0(VALU_DEP_4) | instskip(NEXT) | instid1(VALU_DEP_3)
	v_add_f16_e32 v50, v62, v50
	v_add_f16_e32 v55, v77, v55
	v_fma_f16 v77, v146, 0x2de8, -v255
	s_delay_alu instid0(VALU_DEP_4) | instskip(SKIP_2) | instid1(VALU_DEP_4)
	v_add_f16_e32 v53, v57, v53
	v_fma_f16 v57, v158, 0xbbdd, -v60
	v_add_f16_e32 v50, v70, v50
	v_add_f16_e32 v51, v77, v51
	v_fma_f16 v77, v146, 0x3b76, -v155
	v_add_f16_e32 v53, v66, v53
	s_delay_alu instid0(VALU_DEP_2) | instskip(SKIP_1) | instid1(VALU_DEP_3)
	v_add_f16_e32 v55, v77, v55
	v_fma_f16 v77, v158, 0x39e9, -v156
	v_add_f16_e32 v53, v83, v53
	s_delay_alu instid0(VALU_DEP_3) | instskip(NEXT) | instid1(VALU_DEP_3)
	v_add_f16_e32 v55, v57, v55
	v_add_f16_e32 v51, v77, v51
	v_fma_f16 v57, v161, 0xbbdd, -v64
	s_delay_alu instid0(VALU_DEP_1) | instskip(SKIP_1) | instid1(VALU_DEP_1)
	v_add_f16_e32 v51, v57, v51
	v_fma_f16 v57, v161, 0x39e9, -v68
	v_add_f16_e32 v55, v57, v55
	v_fma_f16 v57, v168, 0xb461, -v75
	s_delay_alu instid0(VALU_DEP_1) | instskip(SKIP_1) | instid1(VALU_DEP_2)
	v_add_f16_e32 v55, v57, v55
	v_fma_f16 v57, v168, 0x3722, -v72
	v_pack_b32_f16 v53, v53, v55
	s_delay_alu instid0(VALU_DEP_2) | instskip(SKIP_2) | instid1(VALU_DEP_3)
	v_add_f16_e32 v51, v57, v51
	v_fma_f16 v55, v41, 0xb461, -v215
	v_fma_f16 v57, v42, 0xbacd, -v217
	v_pack_b32_f16 v50, v50, v51
	v_fma_f16 v51, v41, 0x2de8, -v174
	s_delay_alu instid0(VALU_DEP_4)
	v_add_f16_e32 v55, v36, v55
	ds_store_2addr_b32 v40, v53, v50 offset0:82 offset1:167
	v_fma_f16 v53, v42, 0xbbdd, -v180
	v_add_f16_e32 v51, v36, v51
	v_add_f16_e32 v55, v57, v55
	v_fma_f16 v57, v134, 0xb461, -v219
	v_add_f16_e64 v50, v172, v138
	s_delay_alu instid0(VALU_DEP_4) | instskip(SKIP_1) | instid1(VALU_DEP_3)
	v_add_f16_e32 v51, v53, v51
	v_add_f16_e64 v53, v214, v137
	v_add_f16_e64 v50, v218, v50
	s_delay_alu instid0(VALU_DEP_3) | instskip(SKIP_1) | instid1(VALU_DEP_4)
	v_add_f16_e32 v51, v57, v51
	v_fma_f16 v57, v134, 0x39e9, -v221
	v_add_f16_e64 v53, v220, v53
	s_delay_alu instid0(VALU_DEP_4) | instskip(NEXT) | instid1(VALU_DEP_3)
	v_add_f16_e64 v50, v222, v50
	v_add_f16_e32 v55, v57, v55
	v_fma_f16 v57, v139, 0x3b76, -v223
	s_delay_alu instid0(VALU_DEP_4) | instskip(NEXT) | instid1(VALU_DEP_4)
	v_add_f16_e64 v53, v224, v53
	v_add_f16_e64 v50, v226, v50
	s_delay_alu instid0(VALU_DEP_3) | instskip(SKIP_1) | instid1(VALU_DEP_4)
	v_add_f16_e32 v51, v57, v51
	v_fma_f16 v57, v139, 0x3722, -v225
	v_add_f16_e64 v53, v228, v53
	s_delay_alu instid0(VALU_DEP_4) | instskip(NEXT) | instid1(VALU_DEP_3)
	v_add_f16_e64 v50, v230, v50
	v_add_f16_e32 v55, v57, v55
	v_fma_f16 v57, v146, 0x3722, -v227
	s_delay_alu instid0(VALU_DEP_4) | instskip(NEXT) | instid1(VALU_DEP_4)
	v_add_f16_e64 v53, v232, v53
	v_add_f16_e64 v50, v234, v50
	s_delay_alu instid0(VALU_DEP_3) | instskip(SKIP_1) | instid1(VALU_DEP_4)
	v_add_f16_e32 v51, v57, v51
	v_fma_f16 v57, v146, 0xbbdd, -v229
	v_add_f16_e64 v53, v236, v53
	s_delay_alu instid0(VALU_DEP_4) | instskip(NEXT) | instid1(VALU_DEP_3)
	v_add_f16_e64 v50, v238, v50
	v_add_f16_e32 v55, v57, v55
	v_fma_f16 v57, v158, 0xbacd, -v231
	s_delay_alu instid0(VALU_DEP_4) | instskip(NEXT) | instid1(VALU_DEP_2)
	v_add_f16_e64 v53, v240, v53
	v_add_f16_e32 v51, v57, v51
	v_fma_f16 v57, v158, 0x2de8, -v233
	s_delay_alu instid0(VALU_DEP_1) | instskip(SKIP_1) | instid1(VALU_DEP_1)
	v_add_f16_e32 v55, v57, v55
	v_fma_f16 v57, v161, 0xb8d2, -v235
	v_add_f16_e32 v51, v57, v51
	v_fma_f16 v57, v161, 0x3b76, -v237
	s_delay_alu instid0(VALU_DEP_1) | instskip(SKIP_1) | instid1(VALU_DEP_1)
	v_add_f16_e32 v55, v57, v55
	v_fma_f16 v57, v168, 0xb8d2, -v241
	v_add_f16_e32 v55, v57, v55
	v_fma_f16 v57, v168, 0x39e9, -v239
	s_delay_alu instid0(VALU_DEP_2) | instskip(NEXT) | instid1(VALU_DEP_2)
	v_pack_b32_f16 v53, v53, v55
	v_add_f16_e32 v51, v57, v51
	v_fma_f16 v55, v41, 0x3722, -v178
	v_fma_f16 v57, v42, 0xb8d2, -v181
	s_delay_alu instid0(VALU_DEP_3) | instskip(SKIP_1) | instid1(VALU_DEP_4)
	v_pack_b32_f16 v50, v50, v51
	v_fma_f16 v51, v41, 0x39e9, -v173
	v_add_f16_e32 v55, v36, v55
	v_fma_f16 v41, v41, 0x3b76, -v45
	ds_store_2addr_b32 v127, v53, v50 offset0:124 offset1:209
	v_fma_f16 v53, v42, 0x2de8, -v175
	v_add_f16_e32 v51, v36, v51
	v_add_f16_e32 v55, v57, v55
	v_fma_f16 v57, v134, 0xb8d2, -v185
	v_add_f16_e32 v36, v36, v41
	v_add_f16_e64 v50, v170, v132
	v_add_f16_e32 v51, v53, v51
	v_add_f16_e64 v53, v176, v131
	v_fma_f16 v41, v134, 0x3722, -v136
	v_add_f16_e32 v36, v38, v36
	v_add_f16_e64 v50, v184, v50
	v_add_f16_e32 v51, v57, v51
	v_fma_f16 v57, v134, 0xbbdd, -v193
	v_add_f16_e64 v53, v191, v53
	v_add_f16_e32 v36, v41, v36
	v_add_f16_e64 v50, v194, v50
	s_delay_alu instid0(VALU_DEP_4)
	v_add_f16_e32 v55, v57, v55
	v_fma_f16 v57, v139, 0xbbdd, -v195
	v_add_f16_e64 v53, v196, v53
	v_add_f16_e32 v36, v37, v36
	v_fma_f16 v37, v146, 0xb461, -v148
	v_add_f16_e64 v50, v198, v50
	;; [unrolled: 3-line block ×9, first 2 shown]
	v_add_f16_e32 v36, v37, v36
	s_delay_alu instid0(VALU_DEP_3) | instskip(SKIP_1) | instid1(VALU_DEP_3)
	v_add_f16_e32 v51, v57, v51
	v_fma_f16 v57, v158, 0x3b76, -v205
	v_pack_b32_f16 v35, v35, v36
	s_delay_alu instid0(VALU_DEP_2) | instskip(SKIP_4) | instid1(VALU_DEP_1)
	v_add_f16_e32 v55, v57, v55
	v_fma_f16 v57, v161, 0x3722, -v207
	ds_store_b32 v47, v35 offset:5440
	v_add_f16_e32 v51, v57, v51
	v_fma_f16 v57, v161, 0x2de8, -v209
	v_add_f16_e32 v55, v57, v55
	v_fma_f16 v57, v168, 0xbacd, -v213
	s_delay_alu instid0(VALU_DEP_1) | instskip(SKIP_1) | instid1(VALU_DEP_2)
	v_add_f16_e32 v55, v57, v55
	v_fma_f16 v57, v168, 0x3b76, -v211
	v_pack_b32_f16 v53, v53, v55
	s_delay_alu instid0(VALU_DEP_2) | instskip(NEXT) | instid1(VALU_DEP_1)
	v_add_f16_e32 v51, v57, v51
	v_pack_b32_f16 v50, v50, v51
	ds_store_2addr_b32 v128, v53, v50 offset0:166 offset1:251
	global_wb scope:SCOPE_SE
	s_wait_dscnt 0x0
	s_barrier_signal -1
	s_barrier_wait -1
	global_inv scope:SCOPE_SE
	s_clause 0x7
	global_load_b32 v35, v[33:34], off offset:5780
	global_load_b32 v36, v47, s[0:1] offset:340
	global_load_b32 v37, v47, s[0:1] offset:1020
	;; [unrolled: 1-line block ×7, first 2 shown]
	ds_load_2addr_b32 v[33:34], v47 offset1:85
	s_wait_dscnt 0x0
	v_lshrrev_b32_e32 v51, 16, v33
	s_wait_loadcnt 0x7
	v_lshrrev_b32_e32 v50, 16, v35
	s_delay_alu instid0(VALU_DEP_1) | instskip(NEXT) | instid1(VALU_DEP_3)
	v_mul_f16_e32 v53, v33, v50
	v_mul_f16_e32 v50, v51, v50
	s_delay_alu instid0(VALU_DEP_2) | instskip(NEXT) | instid1(VALU_DEP_2)
	v_fmac_f16_e32 v53, v51, v35
	v_fma_f16 v33, v33, v35, -v50
	v_lshrrev_b32_e32 v35, 16, v34
	s_wait_loadcnt 0x6
	v_lshrrev_b32_e32 v50, 16, v36
	s_delay_alu instid0(VALU_DEP_3) | instskip(NEXT) | instid1(VALU_DEP_2)
	v_pack_b32_f16 v33, v33, v53
	v_mul_f16_e32 v51, v35, v50
	v_mul_f16_e32 v50, v34, v50
	s_delay_alu instid0(VALU_DEP_2) | instskip(NEXT) | instid1(VALU_DEP_2)
	v_fma_f16 v34, v34, v36, -v51
	v_fmac_f16_e32 v50, v35, v36
	s_delay_alu instid0(VALU_DEP_1)
	v_pack_b32_f16 v34, v34, v50
	ds_store_2addr_b32 v47, v33, v34 offset1:85
	s_clause 0x6
	global_load_b32 v35, v47, s[0:1] offset:680
	global_load_b32 v36, v47, s[0:1] offset:1360
	;; [unrolled: 1-line block ×7, first 2 shown]
	ds_load_2addr_b32 v[33:34], v47 offset0:170 offset1:255
	ds_load_b32 v60, v47 offset:5440
	s_wait_dscnt 0x1
	v_lshrrev_b32_e32 v64, 16, v33
	s_wait_loadcnt 0x6
	v_lshrrev_b32_e32 v62, 16, v35
	s_delay_alu instid0(VALU_DEP_1) | instskip(NEXT) | instid1(VALU_DEP_3)
	v_mul_f16_e32 v66, v33, v62
	v_mul_f16_e32 v62, v64, v62
	s_delay_alu instid0(VALU_DEP_2) | instskip(NEXT) | instid1(VALU_DEP_2)
	v_fmac_f16_e32 v66, v64, v35
	v_fma_f16 v33, v33, v35, -v62
	v_lshrrev_b32_e32 v35, 16, v34
	v_lshrrev_b32_e32 v62, 16, v37
	s_delay_alu instid0(VALU_DEP_3) | instskip(NEXT) | instid1(VALU_DEP_2)
	v_pack_b32_f16 v33, v33, v66
	v_mul_f16_e32 v64, v35, v62
	v_mul_f16_e32 v62, v34, v62
	s_delay_alu instid0(VALU_DEP_2) | instskip(NEXT) | instid1(VALU_DEP_2)
	v_fma_f16 v34, v34, v37, -v64
	v_fmac_f16_e32 v62, v35, v37
	s_wait_loadcnt 0x5
	v_lshrrev_b32_e32 v35, 16, v36
	s_delay_alu instid0(VALU_DEP_2)
	v_pack_b32_f16 v34, v34, v62
	ds_store_2addr_b32 v47, v33, v34 offset0:170 offset1:255
	ds_load_2addr_b32 v[33:34], v126 offset0:84 offset1:169
	s_wait_dscnt 0x0
	v_lshrrev_b32_e32 v37, 16, v33
	v_mul_f16_e32 v62, v33, v35
	s_delay_alu instid0(VALU_DEP_2) | instskip(NEXT) | instid1(VALU_DEP_2)
	v_mul_f16_e32 v35, v37, v35
	v_fmac_f16_e32 v62, v37, v36
	s_delay_alu instid0(VALU_DEP_2) | instskip(SKIP_2) | instid1(VALU_DEP_3)
	v_fma_f16 v35, v33, v36, -v35
	v_lshrrev_b32_e32 v33, 16, v34
	v_lshrrev_b32_e32 v36, 16, v38
	v_pack_b32_f16 v35, v35, v62
	s_delay_alu instid0(VALU_DEP_2) | instskip(SKIP_1) | instid1(VALU_DEP_2)
	v_mul_f16_e32 v37, v33, v36
	v_mul_f16_e32 v36, v34, v36
	v_fma_f16 v37, v34, v38, -v37
	s_delay_alu instid0(VALU_DEP_2)
	v_fmac_f16_e32 v36, v33, v38
	ds_load_2addr_b32 v[33:34], v39 offset0:126 offset1:211
	s_wait_loadcnt 0x4
	v_lshrrev_b32_e32 v38, 16, v50
	v_pack_b32_f16 v36, v37, v36
	ds_store_2addr_b32 v126, v35, v36 offset0:84 offset1:169
	s_wait_loadcnt 0x3
	v_lshrrev_b32_e32 v35, 16, v51
	s_wait_dscnt 0x1
	v_lshrrev_b32_e32 v64, 16, v33
	v_mul_f16_e32 v66, v33, v38
	s_delay_alu instid0(VALU_DEP_2) | instskip(NEXT) | instid1(VALU_DEP_2)
	v_mul_f16_e32 v38, v64, v38
	v_fmac_f16_e32 v66, v64, v50
	s_delay_alu instid0(VALU_DEP_2) | instskip(SKIP_2) | instid1(VALU_DEP_3)
	v_fma_f16 v33, v33, v50, -v38
	v_lshrrev_b32_e32 v38, 16, v34
	v_lshrrev_b32_e32 v50, 16, v41
	v_pack_b32_f16 v33, v33, v66
	s_delay_alu instid0(VALU_DEP_2) | instskip(SKIP_1) | instid1(VALU_DEP_2)
	v_mul_f16_e32 v64, v38, v50
	v_mul_f16_e32 v50, v34, v50
	v_fma_f16 v34, v34, v41, -v64
	s_delay_alu instid0(VALU_DEP_2) | instskip(SKIP_2) | instid1(VALU_DEP_2)
	v_fmac_f16_e32 v50, v38, v41
	s_wait_loadcnt 0x2
	v_lshrrev_b32_e32 v41, 16, v53
	v_pack_b32_f16 v34, v34, v50
	ds_store_2addr_b32 v39, v33, v34 offset0:126 offset1:211
	ds_load_2addr_b32 v[33:34], v44 offset0:168 offset1:253
	s_wait_dscnt 0x0
	v_lshrrev_b32_e32 v36, 16, v33
	v_mul_f16_e32 v37, v33, v35
	s_delay_alu instid0(VALU_DEP_2) | instskip(NEXT) | instid1(VALU_DEP_2)
	v_mul_f16_e32 v35, v36, v35
	v_fmac_f16_e32 v37, v36, v51
	v_lshrrev_b32_e32 v36, 16, v42
	s_delay_alu instid0(VALU_DEP_3) | instskip(SKIP_1) | instid1(VALU_DEP_2)
	v_fma_f16 v35, v33, v51, -v35
	v_lshrrev_b32_e32 v33, 16, v34
	v_pack_b32_f16 v35, v35, v37
	s_delay_alu instid0(VALU_DEP_2) | instskip(SKIP_1) | instid1(VALU_DEP_2)
	v_mul_f16_e32 v38, v33, v36
	v_mul_f16_e32 v36, v34, v36
	v_fma_f16 v38, v34, v42, -v38
	s_delay_alu instid0(VALU_DEP_2)
	v_fmac_f16_e32 v36, v33, v42
	ds_load_2addr_b32 v[33:34], v40 offset0:82 offset1:167
	v_pack_b32_f16 v36, v38, v36
	s_wait_dscnt 0x0
	v_lshrrev_b32_e32 v42, 16, v33
	v_mul_f16_e32 v50, v33, v41
	s_delay_alu instid0(VALU_DEP_2) | instskip(NEXT) | instid1(VALU_DEP_2)
	v_mul_f16_e32 v41, v42, v41
	v_fmac_f16_e32 v50, v42, v53
	v_lshrrev_b32_e32 v42, 16, v45
	s_delay_alu instid0(VALU_DEP_3) | instskip(SKIP_1) | instid1(VALU_DEP_1)
	v_fma_f16 v41, v33, v53, -v41
	v_lshrrev_b32_e32 v33, 16, v34
	v_mul_f16_e32 v51, v33, v42
	v_mul_f16_e32 v42, v34, v42
	s_delay_alu instid0(VALU_DEP_2) | instskip(NEXT) | instid1(VALU_DEP_2)
	v_fma_f16 v51, v34, v45, -v51
	v_fmac_f16_e32 v42, v33, v45
	ds_load_2addr_b32 v[33:34], v127 offset0:124 offset1:209
	s_wait_loadcnt 0x1
	v_lshrrev_b32_e32 v45, 16, v55
	s_wait_dscnt 0x0
	v_lshrrev_b32_e32 v53, 16, v33
	s_delay_alu instid0(VALU_DEP_2) | instskip(NEXT) | instid1(VALU_DEP_2)
	v_mul_f16_e32 v62, v33, v45
	v_mul_f16_e32 v45, v53, v45
	s_delay_alu instid0(VALU_DEP_2) | instskip(SKIP_1) | instid1(VALU_DEP_3)
	v_fmac_f16_e32 v62, v53, v55
	v_lshrrev_b32_e32 v53, 16, v46
	v_fma_f16 v45, v33, v55, -v45
	v_lshrrev_b32_e32 v33, 16, v34
	s_delay_alu instid0(VALU_DEP_1) | instskip(SKIP_1) | instid1(VALU_DEP_2)
	v_mul_f16_e32 v55, v33, v53
	v_mul_f16_e32 v53, v34, v53
	v_fma_f16 v55, v34, v46, -v55
	s_delay_alu instid0(VALU_DEP_2)
	v_fmac_f16_e32 v53, v33, v46
	ds_load_2addr_b32 v[33:34], v128 offset0:166 offset1:251
	s_wait_loadcnt 0x0
	v_lshrrev_b32_e32 v46, 16, v57
	s_wait_dscnt 0x0
	v_lshrrev_b32_e32 v64, 16, v33
	s_delay_alu instid0(VALU_DEP_2) | instskip(NEXT) | instid1(VALU_DEP_2)
	v_mul_f16_e32 v66, v33, v46
	v_mul_f16_e32 v46, v64, v46
	s_delay_alu instid0(VALU_DEP_2) | instskip(SKIP_1) | instid1(VALU_DEP_3)
	v_fmac_f16_e32 v66, v64, v57
	v_lshrrev_b32_e32 v64, 16, v34
	v_fma_f16 v33, v33, v57, -v46
	s_clause 0x1
	global_load_b32 v46, v47, s[0:1] offset:5100
	global_load_b32 v57, v47, s[0:1] offset:5440
	ds_store_2addr_b32 v44, v35, v36 offset0:168 offset1:253
	v_pack_b32_f16 v35, v41, v50
	v_pack_b32_f16 v36, v51, v42
	;; [unrolled: 1-line block ×3, first 2 shown]
	ds_store_2addr_b32 v40, v35, v36 offset0:82 offset1:167
	v_pack_b32_f16 v35, v45, v62
	v_pack_b32_f16 v36, v55, v53
	ds_store_2addr_b32 v127, v35, v36 offset0:124 offset1:209
	s_wait_loadcnt 0x1
	v_lshrrev_b32_e32 v68, 16, v46
	s_delay_alu instid0(VALU_DEP_1) | instskip(SKIP_1) | instid1(VALU_DEP_2)
	v_mul_f16_e32 v70, v64, v68
	v_mul_f16_e32 v68, v34, v68
	v_fma_f16 v34, v34, v46, -v70
	s_delay_alu instid0(VALU_DEP_2) | instskip(SKIP_3) | instid1(VALU_DEP_3)
	v_fmac_f16_e32 v68, v64, v46
	v_lshrrev_b32_e32 v46, 16, v60
	s_wait_loadcnt 0x0
	v_lshrrev_b32_e32 v64, 16, v57
	v_pack_b32_f16 v34, v34, v68
	s_delay_alu instid0(VALU_DEP_2) | instskip(SKIP_1) | instid1(VALU_DEP_2)
	v_mul_f16_e32 v70, v46, v64
	v_mul_f16_e32 v64, v60, v64
	v_fma_f16 v60, v60, v57, -v70
	s_delay_alu instid0(VALU_DEP_2) | instskip(NEXT) | instid1(VALU_DEP_1)
	v_fmac_f16_e32 v64, v46, v57
	v_pack_b32_f16 v35, v60, v64
	ds_store_2addr_b32 v128, v33, v34 offset0:166 offset1:251
	ds_store_b32 v47, v35 offset:5440
	global_wb scope:SCOPE_SE
	s_wait_dscnt 0x0
	s_barrier_signal -1
	s_barrier_wait -1
	global_inv scope:SCOPE_SE
	ds_load_2addr_b32 v[33:34], v47 offset1:85
	ds_load_2addr_b32 v[35:36], v47 offset0:170 offset1:255
	ds_load_2addr_b32 v[176:177], v44 offset0:168 offset1:253
	;; [unrolled: 1-line block ×3, first 2 shown]
	s_wait_dscnt 0x3
	v_pk_add_f16 v37, v33, v34
	v_lshrrev_b32_e32 v142, 16, v33
	s_wait_dscnt 0x1
	v_pk_add_f16 v175, v176, v177 neg_lo:[0,1] neg_hi:[0,1]
	s_wait_dscnt 0x0
	v_pk_add_f16 v131, v134, v36
	v_pk_add_f16 v132, v35, v135 neg_lo:[0,1] neg_hi:[0,1]
	v_pk_add_f16 v37, v37, v35
	v_pk_add_f16 v133, v135, v35
	s_delay_alu instid0(VALU_DEP_4) | instskip(NEXT) | instid1(VALU_DEP_4)
	v_lshrrev_b32_e32 v188, 16, v131
	v_lshrrev_b32_e32 v185, 16, v132
	s_delay_alu instid0(VALU_DEP_4)
	v_pk_add_f16 v41, v37, v36
	ds_load_2addr_b32 v[37:38], v126 offset0:84 offset1:169
	v_lshrrev_b32_e32 v186, 16, v133
	v_mul_f16_e64 v148, 0xb8d2, v188
	v_mul_f16_e64 v139, 0xbbf7, v185
	;; [unrolled: 1-line block ×6, first 2 shown]
	v_fma_f16 v51, 0x2de8, v133, v139
	v_fma_f16 v55, 0xb8d2, v133, v143
	v_mul_f16_e64 v68, 0xbbdd, v186
	v_fma_f16 v53, 0x3bf7, v132, v140
	v_fma_f16 v57, 0x3a62, v132, v144
	v_mul_f16_e64 v75, 0x3836, v185
	v_mul_f16_e64 v223, 0xb461, v186
	v_fma_f16 v70, 0x31e1, v132, v68
	v_fmac_f16_e64 v68, 0xb1e1, v132
	v_fmac_f16_e64 v140, 0xbbf7, v132
	v_fma_f16 v77, 0xbacd, v133, v75
	v_fma_f16 v224, 0xbbb2, v132, v223
	s_wait_dscnt 0x0
	v_pk_add_f16 v41, v41, v37
	v_fmac_f16_e64 v223, 0x3bb2, v132
	v_fmac_f16_e64 v144, 0xba62, v132
	s_delay_alu instid0(VALU_DEP_3) | instskip(SKIP_3) | instid1(VALU_DEP_1)
	v_pk_add_f16 v45, v41, v38
	ds_load_2addr_b32 v[41:42], v39 offset0:126 offset1:211
	s_wait_dscnt 0x0
	v_pk_add_f16 v39, v45, v41
	v_pk_add_f16 v129, v39, v42
	ds_load_2addr_b32 v[39:40], v40 offset0:82 offset1:167
	v_pk_add_f16 v50, v129, v176
	ds_load_2addr_b32 v[129:130], v127 offset0:124 offset1:209
	v_pk_add_f16 v176, v177, v176
	v_pk_add_f16 v50, v50, v177
	s_wait_dscnt 0x1
	v_pk_add_f16 v46, v42, v39 neg_lo:[0,1] neg_hi:[0,1]
	v_pk_add_f16 v42, v39, v42
	s_delay_alu instid0(VALU_DEP_3)
	v_pk_add_f16 v39, v50, v39
	v_pk_add_f16 v45, v41, v40 neg_lo:[0,1] neg_hi:[0,1]
	v_pk_add_f16 v41, v40, v41
	v_lshrrev_b32_e32 v195, 16, v46
	v_lshrrev_b32_e32 v196, 16, v42
	v_pk_add_f16 v50, v39, v40
	s_wait_dscnt 0x0
	v_pk_add_f16 v39, v37, v130 neg_lo:[0,1] neg_hi:[0,1]
	v_pk_add_f16 v40, v130, v37
	v_pk_add_f16 v37, v38, v129 neg_lo:[0,1] neg_hi:[0,1]
	v_pk_add_f16 v38, v129, v38
	v_pk_add_f16 v50, v50, v129
	v_lshrrev_b32_e32 v189, 16, v39
	v_lshrrev_b32_e32 v190, 16, v40
	;; [unrolled: 1-line block ×4, first 2 shown]
	v_pk_add_f16 v50, v50, v130
	v_pk_add_f16 v130, v36, v134 neg_lo:[0,1] neg_hi:[0,1]
	ds_load_b32 v36, v47 offset:5440
	v_mul_f16_e64 v153, 0xb1e1, v189
	v_mul_f16_e64 v152, 0xbbdd, v190
	v_pk_add_f16 v35, v50, v134
	v_pk_mul_f16 v60, 0xbb29, v130 op_sel_hi:[0,1]
	v_lshrrev_b32_e32 v187, 16, v130
	v_mul_f16_e64 v155, 0x3bb2, v189
	v_mul_f16_e64 v154, 0xb461, v190
	v_pk_add_f16 v35, v35, v135
	v_pk_fma_f16 v129, 0x3722, v131, v60 op_sel:[0,0,1] op_sel_hi:[0,1,0] neg_lo:[0,0,1] neg_hi:[0,0,1]
	v_mul_f16_e64 v149, 0xba62, v187
	v_mul_f16_e64 v151, 0x31e1, v187
	;; [unrolled: 1-line block ×6, first 2 shown]
	v_lshrrev_b32_e32 v193, 16, v45
	v_lshrrev_b32_e32 v194, 16, v41
	v_mul_f16_e64 v167, 0x3b29, v195
	v_mul_f16_e64 v166, 0x3722, v196
	s_wait_dscnt 0x0
	v_pk_add_f16 v136, v34, v36 neg_lo:[0,1] neg_hi:[0,1]
	v_pk_add_f16 v170, v36, v34
	v_pk_add_f16 v197, v35, v36
	v_pk_mul_f16 v35, 0xb964, v132 op_sel_hi:[0,1]
	v_mul_f16_e64 v163, 0x3bb2, v193
	v_pk_mul_f16 v34, 0xb5c8, v136 op_sel_hi:[0,1]
	v_lshrrev_b32_e32 v183, 16, v136
	v_lshrrev_b32_e32 v184, 16, v170
	v_mul_f16_e64 v162, 0xb461, v194
	v_mul_f16_e64 v165, 0xb5c8, v193
	v_pk_fma_f16 v171, 0x3b76, v170, v34 op_sel:[0,0,1] op_sel_hi:[0,1,0]
	v_pk_fma_f16 v172, 0x3b76, v170, v34 op_sel:[0,0,1] op_sel_hi:[0,1,0] neg_lo:[0,0,1] neg_hi:[0,0,1]
	v_pk_fma_f16 v34, 0x39e9, v133, v35 op_sel:[0,0,1] op_sel_hi:[0,1,0]
	v_pk_fma_f16 v35, 0x39e9, v133, v35 op_sel:[0,0,1] op_sel_hi:[0,1,0] neg_lo:[0,0,1] neg_hi:[0,0,1]
	v_mul_f16_e64 v173, 0xb964, v183
	v_mul_f16_e64 v141, 0x39e9, v184
	v_bfi_b32 v36, 0xffff, v171, v172
	v_mul_f16_e64 v174, 0xbb29, v183
	v_bfi_b32 v50, 0xffff, v34, v35
	v_mul_f16_e64 v147, 0x3722, v184
	v_mul_f16_e64 v164, 0x3b76, v194
	v_pk_add_f16 v36, v33, v36
	v_mul_f16_e64 v168, 0xbbf7, v195
	v_mul_f16_e64 v169, 0x2de8, v196
	global_wb scope:SCOPE_SE
	s_barrier_signal -1
	v_pk_add_f16 v50, v50, v36
	v_fma_f16 v36, 0x39e9, v170, v173
	s_barrier_wait -1
	global_inv scope:SCOPE_SE
	v_add_f16_e32 v36, v33, v36
	s_delay_alu instid0(VALU_DEP_1) | instskip(SKIP_2) | instid1(VALU_DEP_2)
	v_add_f16_e32 v51, v51, v36
	v_fma_f16 v36, 0x3964, v136, v141
	v_fmac_f16_e64 v141, 0xb964, v136
	v_add_f16_e64 v36, v142, v36
	s_delay_alu instid0(VALU_DEP_1) | instskip(SKIP_1) | instid1(VALU_DEP_1)
	v_add_f16_e32 v53, v53, v36
	v_fma_f16 v36, 0x3722, v170, v174
	v_add_f16_e32 v36, v33, v36
	s_delay_alu instid0(VALU_DEP_1) | instskip(SKIP_2) | instid1(VALU_DEP_2)
	v_add_f16_e32 v55, v55, v36
	v_fma_f16 v36, 0x3b29, v136, v147
	v_fmac_f16_e64 v147, 0xbb29, v136
	v_add_f16_e64 v36, v142, v36
	s_delay_alu instid0(VALU_DEP_1) | instskip(SKIP_1) | instid1(VALU_DEP_1)
	v_add_f16_e32 v57, v57, v36
	v_pk_fma_f16 v36, 0x3722, v131, v60 op_sel:[0,0,1] op_sel_hi:[0,1,0]
	v_bfi_b32 v60, 0xffff, v36, v129
	s_delay_alu instid0(VALU_DEP_1) | instskip(SKIP_1) | instid1(VALU_DEP_1)
	v_pk_add_f16 v50, v60, v50
	v_fma_f16 v60, 0xb8d2, v131, v149
	v_add_f16_e32 v51, v60, v51
	v_fma_f16 v60, 0x3a62, v130, v148
	v_fmac_f16_e64 v148, 0xba62, v130
	s_delay_alu instid0(VALU_DEP_2) | instskip(SKIP_1) | instid1(VALU_DEP_1)
	v_add_f16_e32 v53, v60, v53
	v_fma_f16 v60, 0xbbdd, v131, v151
	v_add_f16_e32 v55, v60, v55
	v_fma_f16 v60, 0xb1e1, v130, v150
	v_fmac_f16_e64 v150, 0x31e1, v130
	s_delay_alu instid0(VALU_DEP_2) | instskip(SKIP_1) | instid1(VALU_DEP_1)
	v_add_f16_e32 v57, v60, v57
	v_pk_mul_f16 v60, 0xbbf7, v39 op_sel_hi:[0,1]
	v_pk_fma_f16 v134, 0x2de8, v40, v60 op_sel:[0,0,1] op_sel_hi:[0,1,0]
	v_pk_fma_f16 v135, 0x2de8, v40, v60 op_sel:[0,0,1] op_sel_hi:[0,1,0] neg_lo:[0,0,1] neg_hi:[0,0,1]
	s_delay_alu instid0(VALU_DEP_1) | instskip(NEXT) | instid1(VALU_DEP_1)
	v_bfi_b32 v60, 0xffff, v134, v135
	v_pk_add_f16 v50, v60, v50
	v_fma_f16 v60, 0xbbdd, v40, v153
	s_delay_alu instid0(VALU_DEP_1) | instskip(SKIP_2) | instid1(VALU_DEP_2)
	v_add_f16_e32 v51, v60, v51
	v_fma_f16 v60, 0x31e1, v39, v152
	v_fmac_f16_e64 v152, 0xb1e1, v39
	v_add_f16_e32 v53, v60, v53
	v_fma_f16 v60, 0xb461, v40, v155
	s_delay_alu instid0(VALU_DEP_1) | instskip(SKIP_2) | instid1(VALU_DEP_2)
	v_add_f16_e32 v55, v60, v55
	v_fma_f16 v60, 0xbbb2, v39, v154
	v_fmac_f16_e64 v154, 0x3bb2, v39
	v_add_f16_e32 v57, v60, v57
	v_pk_mul_f16 v60, 0xbbb2, v37 op_sel_hi:[0,1]
	s_delay_alu instid0(VALU_DEP_1) | instskip(SKIP_1) | instid1(VALU_DEP_1)
	v_pk_fma_f16 v137, 0xb461, v38, v60 op_sel:[0,0,1] op_sel_hi:[0,1,0]
	v_pk_fma_f16 v138, 0xb461, v38, v60 op_sel:[0,0,1] op_sel_hi:[0,1,0] neg_lo:[0,0,1] neg_hi:[0,0,1]
	v_bfi_b32 v60, 0xffff, v137, v138
	s_delay_alu instid0(VALU_DEP_1) | instskip(SKIP_1) | instid1(VALU_DEP_1)
	v_pk_add_f16 v50, v60, v50
	v_fma_f16 v60, 0xbacd, v38, v159
	v_add_f16_e32 v51, v60, v51
	v_fma_f16 v60, 0xb836, v37, v158
	v_fmac_f16_e64 v158, 0x3836, v37
	s_delay_alu instid0(VALU_DEP_2) | instskip(SKIP_1) | instid1(VALU_DEP_1)
	v_add_f16_e32 v53, v60, v53
	v_fma_f16 v60, 0x39e9, v38, v161
	v_add_f16_e32 v55, v60, v55
	v_fma_f16 v60, 0xb964, v37, v160
	v_fmac_f16_e64 v160, 0x3964, v37
	s_delay_alu instid0(VALU_DEP_2) | instskip(SKIP_1) | instid1(VALU_DEP_1)
	v_add_f16_e32 v57, v60, v57
	v_pk_mul_f16 v60, 0xba62, v45 op_sel_hi:[0,1]
	v_pk_fma_f16 v145, 0xb8d2, v41, v60 op_sel:[0,0,1] op_sel_hi:[0,1,0]
	v_pk_fma_f16 v146, 0xb8d2, v41, v60 op_sel:[0,0,1] op_sel_hi:[0,1,0] neg_lo:[0,0,1] neg_hi:[0,0,1]
	s_delay_alu instid0(VALU_DEP_1) | instskip(NEXT) | instid1(VALU_DEP_1)
	v_bfi_b32 v60, 0xffff, v145, v146
	v_pk_add_f16 v50, v60, v50
	v_fma_f16 v60, 0xb461, v41, v163
	s_delay_alu instid0(VALU_DEP_1) | instskip(SKIP_2) | instid1(VALU_DEP_2)
	v_add_f16_e32 v51, v60, v51
	v_fma_f16 v60, 0xbbb2, v45, v162
	v_fmac_f16_e64 v162, 0x3bb2, v45
	v_add_f16_e32 v53, v60, v53
	v_fma_f16 v60, 0x3b76, v41, v165
	s_delay_alu instid0(VALU_DEP_1) | instskip(SKIP_2) | instid1(VALU_DEP_2)
	v_add_f16_e32 v55, v60, v55
	v_fma_f16 v60, 0x35c8, v45, v164
	v_fmac_f16_e64 v164, 0xb5c8, v45
	v_add_f16_e32 v57, v60, v57
	v_pk_mul_f16 v60, 0xb836, v46 op_sel_hi:[0,1]
	s_delay_alu instid0(VALU_DEP_1) | instskip(SKIP_1) | instid1(VALU_DEP_1)
	v_pk_fma_f16 v156, 0xbacd, v42, v60 op_sel:[0,0,1] op_sel_hi:[0,1,0]
	v_pk_fma_f16 v157, 0xbacd, v42, v60 op_sel:[0,0,1] op_sel_hi:[0,1,0] neg_lo:[0,0,1] neg_hi:[0,0,1]
	v_bfi_b32 v60, 0xffff, v156, v157
	s_delay_alu instid0(VALU_DEP_1) | instskip(SKIP_1) | instid1(VALU_DEP_1)
	v_pk_add_f16 v50, v60, v50
	v_fma_f16 v60, 0x3722, v42, v167
	v_add_f16_e32 v51, v60, v51
	v_fma_f16 v60, 0xbb29, v46, v166
	v_fmac_f16_e64 v166, 0x3b29, v46
	s_delay_alu instid0(VALU_DEP_2) | instskip(SKIP_1) | instid1(VALU_DEP_1)
	v_add_f16_e32 v53, v60, v53
	v_fma_f16 v60, 0x2de8, v42, v168
	v_add_f16_e32 v55, v60, v55
	v_fma_f16 v60, 0x3bf7, v46, v169
	v_fmac_f16_e64 v169, 0xbbf7, v46
	s_delay_alu instid0(VALU_DEP_2) | instskip(SKIP_1) | instid1(VALU_DEP_1)
	v_add_f16_e32 v57, v60, v57
	v_lshrrev_b32_e32 v60, 16, v175
	v_mul_f16_e64 v177, 0x35c8, v60
	v_mul_f16_e64 v181, 0xb836, v60
	s_delay_alu instid0(VALU_DEP_2) | instskip(NEXT) | instid1(VALU_DEP_1)
	v_fma_f16 v62, 0x3b76, v176, v177
	v_add_f16_e32 v51, v62, v51
	v_lshrrev_b32_e32 v62, 16, v176
	s_delay_alu instid0(VALU_DEP_1) | instskip(SKIP_1) | instid1(VALU_DEP_2)
	v_mul_f16_e64 v178, 0x3b76, v62
	v_mul_f16_e64 v182, 0xbacd, v62
	v_fma_f16 v64, 0xb5c8, v175, v178
	v_fmac_f16_e64 v178, 0x35c8, v175
	s_delay_alu instid0(VALU_DEP_2) | instskip(SKIP_1) | instid1(VALU_DEP_2)
	v_add_f16_e32 v53, v64, v53
	v_fma_f16 v64, 0xbacd, v176, v181
	v_pack_b32_f16 v51, v51, v53
	s_delay_alu instid0(VALU_DEP_2) | instskip(SKIP_2) | instid1(VALU_DEP_2)
	v_add_f16_e32 v55, v64, v55
	v_fma_f16 v64, 0x3836, v175, v182
	v_fmac_f16_e64 v182, 0xb836, v175
	v_add_f16_e32 v57, v64, v57
	v_pk_mul_f16 v64, 0xb1e1, v175 op_sel_hi:[0,1]
	s_delay_alu instid0(VALU_DEP_2) | instskip(NEXT) | instid1(VALU_DEP_2)
	v_pack_b32_f16 v55, v55, v57
	v_pk_fma_f16 v179, 0xbbdd, v176, v64 op_sel:[0,0,1] op_sel_hi:[0,1,0]
	v_pk_fma_f16 v180, 0xbbdd, v176, v64 op_sel:[0,0,1] op_sel_hi:[0,1,0] neg_lo:[0,0,1] neg_hi:[0,0,1]
	v_mul_f16_e64 v57, 0xb1e1, v185
	ds_store_2addr_b32 v43, v51, v55 offset0:2 offset1:3
	v_mul_f16_e64 v51, 0xba62, v183
	v_bfi_b32 v64, 0xffff, v179, v180
	s_delay_alu instid0(VALU_DEP_2) | instskip(NEXT) | instid1(VALU_DEP_2)
	v_fma_f16 v55, 0xb8d2, v170, v51
	v_pk_add_f16 v50, v64, v50
	v_fma_f16 v64, 0xbbdd, v133, v57
	v_fma_f16 v51, v170, 0xb8d2, -v51
	s_delay_alu instid0(VALU_DEP_4)
	v_add_f16_e32 v55, v33, v55
	ds_store_2addr_b32 v43, v197, v50 offset1:1
	v_mul_f16_e64 v50, 0xbbf7, v183
	v_mul_f16_e64 v197, 0xbacd, v186
	;; [unrolled: 1-line block ×3, first 2 shown]
	v_add_f16_e32 v51, v33, v51
	s_delay_alu instid0(VALU_DEP_4) | instskip(NEXT) | instid1(VALU_DEP_4)
	v_fma_f16 v53, 0x2de8, v170, v50
	v_fma_f16 v198, 0xb836, v132, v197
	s_delay_alu instid0(VALU_DEP_4) | instskip(SKIP_4) | instid1(VALU_DEP_4)
	v_fma_f16 v226, 0xbb29, v132, v186
	v_fma_f16 v50, v170, 0x2de8, -v50
	v_fmac_f16_e64 v186, 0x3b29, v132
	v_add_f16_e32 v53, v33, v53
	v_fmac_f16_e64 v197, 0x3836, v132
	v_add_f16_e32 v50, v33, v50
	s_delay_alu instid0(VALU_DEP_3) | instskip(SKIP_1) | instid1(VALU_DEP_1)
	v_add_f16_e32 v53, v64, v53
	v_mul_f16_e64 v64, 0x2de8, v184
	v_fma_f16 v66, 0x3bf7, v136, v64
	v_fmac_f16_e64 v64, 0xbbf7, v136
	s_delay_alu instid0(VALU_DEP_2) | instskip(NEXT) | instid1(VALU_DEP_1)
	v_add_f16_e64 v66, v142, v66
	v_add_f16_e32 v66, v70, v66
	v_mul_f16_e64 v70, 0xbbb2, v183
	v_mul_f16_e64 v183, 0xb836, v183
	s_delay_alu instid0(VALU_DEP_2) | instskip(SKIP_1) | instid1(VALU_DEP_2)
	v_fma_f16 v72, 0xb461, v170, v70
	v_fma_f16 v70, v170, 0xb461, -v70
	v_add_f16_e32 v72, v33, v72
	s_delay_alu instid0(VALU_DEP_2) | instskip(NEXT) | instid1(VALU_DEP_2)
	v_add_f16_e32 v70, v33, v70
	v_add_f16_e32 v72, v77, v72
	v_mul_f16_e64 v77, 0xb461, v184
	s_delay_alu instid0(VALU_DEP_1) | instskip(SKIP_1) | instid1(VALU_DEP_2)
	v_fma_f16 v83, 0x3bb2, v136, v77
	v_fmac_f16_e64 v77, 0xbbb2, v136
	v_add_f16_e64 v83, v142, v83
	s_delay_alu instid0(VALU_DEP_1) | instskip(SKIP_1) | instid1(VALU_DEP_1)
	v_add_f16_e64 v83, v198, v83
	v_mul_f16_e64 v198, 0x3bb2, v187
	v_fma_f16 v199, 0xb461, v131, v198
	s_delay_alu instid0(VALU_DEP_1) | instskip(SKIP_1) | instid1(VALU_DEP_1)
	v_add_f16_e64 v53, v199, v53
	v_mul_f16_e64 v199, 0xb461, v188
	v_fma_f16 v200, 0xbbb2, v130, v199
	v_fmac_f16_e64 v199, 0x3bb2, v130
	s_delay_alu instid0(VALU_DEP_2) | instskip(SKIP_1) | instid1(VALU_DEP_1)
	v_add_f16_e64 v66, v200, v66
	v_mul_f16_e64 v200, 0x3964, v187
	v_fma_f16 v201, 0x39e9, v131, v200
	s_delay_alu instid0(VALU_DEP_1) | instskip(SKIP_1) | instid1(VALU_DEP_1)
	v_add_f16_e64 v72, v201, v72
	v_mul_f16_e64 v201, 0x39e9, v188
	v_fma_f16 v202, 0xb964, v130, v201
	v_fmac_f16_e64 v201, 0x3964, v130
	s_delay_alu instid0(VALU_DEP_2) | instskip(SKIP_1) | instid1(VALU_DEP_1)
	;; [unrolled: 9-line block ×10, first 2 shown]
	v_add_f16_e64 v83, v218, v83
	v_mul_f16_e64 v218, 0x3964, v60
	v_fma_f16 v219, 0x39e9, v176, v218
	s_delay_alu instid0(VALU_DEP_1) | instskip(SKIP_1) | instid1(VALU_DEP_1)
	v_add_f16_e64 v53, v219, v53
	v_mul_f16_e64 v219, 0xba62, v60
	v_fma_f16 v220, 0xb8d2, v176, v219
	s_delay_alu instid0(VALU_DEP_1) | instskip(SKIP_1) | instid1(VALU_DEP_1)
	v_add_f16_e64 v72, v220, v72
	v_mul_f16_e64 v220, 0xb8d2, v62
	v_fma_f16 v221, 0x3a62, v175, v220
	v_fmac_f16_e64 v220, 0xba62, v175
	s_delay_alu instid0(VALU_DEP_2) | instskip(SKIP_1) | instid1(VALU_DEP_2)
	v_add_f16_e64 v83, v221, v83
	v_mul_f16_e64 v221, 0x39e9, v62
	v_pack_b32_f16 v72, v72, v83
	s_delay_alu instid0(VALU_DEP_2) | instskip(SKIP_1) | instid1(VALU_DEP_2)
	v_fma_f16 v222, 0xb964, v175, v221
	v_fmac_f16_e64 v221, 0x3964, v175
	v_add_f16_e64 v66, v222, v66
	s_delay_alu instid0(VALU_DEP_1) | instskip(SKIP_2) | instid1(VALU_DEP_2)
	v_pack_b32_f16 v53, v53, v66
	v_mul_f16_e64 v66, 0x3bb2, v185
	v_mul_f16_e64 v185, 0x3b29, v185
	v_fma_f16 v83, 0xb461, v133, v66
	s_delay_alu instid0(VALU_DEP_2) | instskip(NEXT) | instid1(VALU_DEP_2)
	v_fma_f16 v225, 0x3722, v133, v185
	v_add_f16_e32 v55, v83, v55
	v_mul_f16_e64 v83, 0xb8d2, v184
	v_mul_f16_e64 v184, 0xbacd, v184
	s_delay_alu instid0(VALU_DEP_2) | instskip(SKIP_1) | instid1(VALU_DEP_2)
	v_fma_f16 v222, 0x3a62, v136, v83
	v_fmac_f16_e64 v83, 0xba62, v136
	v_add_f16_e64 v222, v142, v222
	s_delay_alu instid0(VALU_DEP_1) | instskip(SKIP_1) | instid1(VALU_DEP_1)
	v_add_f16_e64 v222, v224, v222
	v_fma_f16 v224, 0xbacd, v170, v183
	v_add_f16_e64 v224, v33, v224
	s_delay_alu instid0(VALU_DEP_1) | instskip(SKIP_2) | instid1(VALU_DEP_2)
	v_add_f16_e64 v224, v225, v224
	v_fma_f16 v225, 0x3836, v136, v184
	v_fmac_f16_e64 v184, 0xb836, v136
	v_add_f16_e64 v225, v142, v225
	s_delay_alu instid0(VALU_DEP_1) | instskip(SKIP_2) | instid1(VALU_DEP_2)
	v_add_f16_e64 v225, v226, v225
	v_mul_f16_e64 v226, 0xb5c8, v187
	v_mul_f16_e64 v187, 0xbbf7, v187
	v_fma_f16 v227, 0x3b76, v131, v226
	s_delay_alu instid0(VALU_DEP_1) | instskip(SKIP_2) | instid1(VALU_DEP_2)
	v_add_f16_e64 v55, v227, v55
	v_mul_f16_e64 v227, 0x3b76, v188
	v_mul_f16_e64 v188, 0x2de8, v188
	v_fma_f16 v228, 0x35c8, v130, v227
	v_fmac_f16_e64 v227, 0xb5c8, v130
	s_delay_alu instid0(VALU_DEP_2) | instskip(SKIP_1) | instid1(VALU_DEP_1)
	v_add_f16_e64 v222, v228, v222
	v_fma_f16 v228, 0x2de8, v131, v187
	v_add_f16_e64 v224, v228, v224
	v_fma_f16 v228, 0x3bf7, v130, v188
	v_fmac_f16_e64 v188, 0xbbf7, v130
	s_delay_alu instid0(VALU_DEP_2) | instskip(SKIP_2) | instid1(VALU_DEP_2)
	v_add_f16_e64 v225, v228, v225
	v_mul_f16_e64 v228, 0xb836, v189
	v_mul_f16_e64 v189, 0x3a62, v189
	v_fma_f16 v229, 0xbacd, v40, v228
	s_delay_alu instid0(VALU_DEP_1) | instskip(SKIP_2) | instid1(VALU_DEP_2)
	v_add_f16_e64 v55, v229, v55
	v_mul_f16_e64 v229, 0xbacd, v190
	v_mul_f16_e64 v190, 0xb8d2, v190
	v_fma_f16 v230, 0x3836, v39, v229
	v_fmac_f16_e64 v229, 0xb836, v39
	s_delay_alu instid0(VALU_DEP_2) | instskip(SKIP_1) | instid1(VALU_DEP_1)
	v_add_f16_e64 v222, v230, v222
	v_fma_f16 v230, 0xb8d2, v40, v189
	v_add_f16_e64 v224, v230, v224
	v_fma_f16 v230, 0xba62, v39, v190
	v_fmac_f16_e64 v190, 0x3a62, v39
	s_delay_alu instid0(VALU_DEP_2) | instskip(SKIP_2) | instid1(VALU_DEP_2)
	;; [unrolled: 17-line block ×5, first 2 shown]
	v_add_f16_e64 v225, v236, v225
	v_mul_f16_e64 v236, 0x3b29, v60
	v_mul_f16_e32 v60, 0xbbb2, v60
	v_fma_f16 v237, 0x3722, v176, v236
	s_delay_alu instid0(VALU_DEP_1) | instskip(NEXT) | instid1(VALU_DEP_3)
	v_add_f16_e64 v55, v237, v55
	v_fma_f16 v237, 0xb461, v176, v60
	v_fma_f16 v60, v176, 0xb461, -v60
	s_delay_alu instid0(VALU_DEP_2) | instskip(SKIP_2) | instid1(VALU_DEP_2)
	v_add_f16_e64 v224, v237, v224
	v_mul_f16_e64 v237, 0xb461, v62
	v_mul_f16_e32 v62, 0x3722, v62
	v_fma_f16 v238, 0x3bb2, v175, v237
	v_fmac_f16_e64 v237, 0xbbb2, v175
	s_delay_alu instid0(VALU_DEP_2) | instskip(NEXT) | instid1(VALU_DEP_4)
	v_add_f16_e64 v225, v238, v225
	v_fma_f16 v238, 0xbb29, v175, v62
	v_fmac_f16_e64 v62, 0x3b29, v175
	s_delay_alu instid0(VALU_DEP_3) | instskip(NEXT) | instid1(VALU_DEP_3)
	v_pack_b32_f16 v224, v224, v225
	v_add_f16_e64 v222, v238, v222
	s_delay_alu instid0(VALU_DEP_1)
	v_pack_b32_f16 v55, v55, v222
	ds_store_2addr_b32 v43, v53, v72 offset0:4 offset1:5
	ds_store_2addr_b32 v43, v55, v224 offset0:6 offset1:7
	v_fma_f16 v53, v133, 0xb461, -v66
	v_fma_f16 v55, v170, 0xbacd, -v183
	v_fma_f16 v66, v133, 0x3722, -v185
	v_fma_f16 v72, v131, 0x3b76, -v226
	s_delay_alu instid0(VALU_DEP_4) | instskip(NEXT) | instid1(VALU_DEP_4)
	v_add_f16_e32 v51, v53, v51
	v_add_f16_e32 v55, v33, v55
	v_add_f16_e64 v53, v142, v83
	v_fma_f16 v83, v170, 0x3722, -v174
	s_delay_alu instid0(VALU_DEP_4) | instskip(NEXT) | instid1(VALU_DEP_4)
	v_add_f16_e32 v51, v72, v51
	v_add_f16_e32 v55, v66, v55
	v_fma_f16 v72, v131, 0x2de8, -v187
	v_add_f16_e64 v53, v223, v53
	v_add_f16_e32 v83, v33, v83
	v_add_f16_e64 v66, v142, v184
	s_delay_alu instid0(VALU_DEP_4) | instskip(SKIP_2) | instid1(VALU_DEP_4)
	v_add_f16_e32 v55, v72, v55
	v_fma_f16 v72, v40, 0xbacd, -v228
	v_add_f16_e64 v53, v227, v53
	v_add_f16_e64 v66, v186, v66
	s_delay_alu instid0(VALU_DEP_3) | instskip(SKIP_1) | instid1(VALU_DEP_4)
	v_add_f16_e32 v51, v72, v51
	v_fma_f16 v72, v40, 0xb8d2, -v189
	v_add_f16_e64 v53, v229, v53
	s_delay_alu instid0(VALU_DEP_4) | instskip(NEXT) | instid1(VALU_DEP_3)
	v_add_f16_e64 v66, v188, v66
	v_add_f16_e32 v55, v72, v55
	v_fma_f16 v72, v38, 0x2de8, -v230
	s_delay_alu instid0(VALU_DEP_4) | instskip(NEXT) | instid1(VALU_DEP_4)
	v_add_f16_e64 v53, v231, v53
	v_add_f16_e64 v66, v190, v66
	s_delay_alu instid0(VALU_DEP_3) | instskip(SKIP_1) | instid1(VALU_DEP_4)
	v_add_f16_e32 v51, v72, v51
	v_fma_f16 v72, v38, 0x3b76, -v191
	v_add_f16_e64 v53, v233, v53
	s_delay_alu instid0(VALU_DEP_4) | instskip(NEXT) | instid1(VALU_DEP_3)
	v_add_f16_e64 v66, v192, v66
	v_add_f16_e32 v55, v72, v55
	v_fma_f16 v72, v41, 0x39e9, -v232
	s_delay_alu instid0(VALU_DEP_4) | instskip(NEXT) | instid1(VALU_DEP_4)
	v_add_f16_e64 v53, v235, v53
	v_add_f16_e64 v66, v194, v66
	s_delay_alu instid0(VALU_DEP_3) | instskip(SKIP_1) | instid1(VALU_DEP_4)
	v_add_f16_e32 v51, v72, v51
	v_fma_f16 v72, v41, 0xbbdd, -v193
	v_add_f16_e32 v53, v62, v53
	v_bfi_b32 v62, 0xffff, v172, v171
	v_add_f16_e64 v66, v196, v66
	s_delay_alu instid0(VALU_DEP_4) | instskip(SKIP_1) | instid1(VALU_DEP_4)
	v_add_f16_e32 v55, v72, v55
	v_fma_f16 v72, v42, 0xbbdd, -v234
	v_pk_add_f16 v62, v33, v62
	s_delay_alu instid0(VALU_DEP_4) | instskip(NEXT) | instid1(VALU_DEP_3)
	v_add_f16_e64 v66, v237, v66
	v_add_f16_e32 v51, v72, v51
	v_fma_f16 v72, v42, 0x39e9, -v195
	s_delay_alu instid0(VALU_DEP_1) | instskip(SKIP_1) | instid1(VALU_DEP_2)
	v_add_f16_e32 v55, v72, v55
	v_fma_f16 v72, v176, 0x3722, -v236
	v_add_f16_e32 v55, v60, v55
	s_delay_alu instid0(VALU_DEP_2) | instskip(SKIP_3) | instid1(VALU_DEP_4)
	v_add_f16_e32 v51, v72, v51
	v_fma_f16 v72, v170, 0x39e9, -v173
	v_pk_mul_f16 v170, 0xbbdd, v170 op_sel_hi:[0,1]
	v_pk_mul_f16 v60, 0x3b76, v133 op_sel_hi:[0,1]
	v_pack_b32_f16 v51, v51, v53
	s_delay_alu instid0(VALU_DEP_4) | instskip(NEXT) | instid1(VALU_DEP_4)
	v_add_f16_e32 v72, v33, v72
	v_pk_fma_f16 v171, 0xb1e1, v136, v170 op_sel:[0,0,1] op_sel_hi:[0,1,0]
	v_pk_fma_f16 v170, 0xb1e1, v136, v170 op_sel:[0,0,1] op_sel_hi:[0,1,0] neg_lo:[0,1,0] neg_hi:[0,1,0]
	v_pack_b32_f16 v53, v55, v66
	v_fma_f16 v55, v133, 0xbacd, -v75
	s_wait_alu 0xfffe
	v_alignbit_b32 v172, s0, v171, 16
	v_pk_add_f16 v170, v33, v170 op_sel:[1,0] op_sel_hi:[0,1]
	s_delay_alu instid0(VALU_DEP_3) | instskip(NEXT) | instid1(VALU_DEP_3)
	v_add_f16_e32 v55, v55, v70
	v_pk_add_f16 v172, v33, v172
	v_alignbit_b32 v33, s0, v33, 16
	s_delay_alu instid0(VALU_DEP_1) | instskip(SKIP_2) | instid1(VALU_DEP_2)
	v_pk_add_f16 v33, v33, v171
	v_pk_fma_f16 v171, 0x35c8, v132, v60 op_sel:[0,0,1] op_sel_hi:[0,1,0]
	v_pk_fma_f16 v60, 0x35c8, v132, v60 op_sel:[0,0,1] op_sel_hi:[0,1,0] neg_lo:[0,1,0] neg_hi:[0,1,0]
	v_alignbit_b32 v173, s0, v171, 16
	s_delay_alu instid0(VALU_DEP_2) | instskip(SKIP_2) | instid1(VALU_DEP_4)
	v_pk_add_f16 v60, v60, v170
	v_pk_mul_f16 v170, 0xbacd, v131 op_sel_hi:[0,1]
	v_pk_add_f16 v33, v171, v33
	v_pk_add_f16 v172, v173, v172
	s_delay_alu instid0(VALU_DEP_3) | instskip(SKIP_1) | instid1(VALU_DEP_2)
	v_pk_fma_f16 v171, 0xb836, v130, v170 op_sel:[0,0,1] op_sel_hi:[0,1,0]
	v_pk_fma_f16 v170, 0xb836, v130, v170 op_sel:[0,0,1] op_sel_hi:[0,1,0] neg_lo:[0,1,0] neg_hi:[0,1,0]
	v_alignbit_b32 v173, s0, v171, 16
	s_delay_alu instid0(VALU_DEP_2) | instskip(SKIP_2) | instid1(VALU_DEP_4)
	v_pk_add_f16 v60, v170, v60
	v_pk_mul_f16 v170, 0x39e9, v40 op_sel_hi:[0,1]
	v_pk_add_f16 v33, v171, v33
	v_pk_add_f16 v172, v173, v172
	s_delay_alu instid0(VALU_DEP_3) | instskip(SKIP_1) | instid1(VALU_DEP_2)
	v_pk_fma_f16 v171, 0x3964, v39, v170 op_sel:[0,0,1] op_sel_hi:[0,1,0]
	v_pk_fma_f16 v170, 0x3964, v39, v170 op_sel:[0,0,1] op_sel_hi:[0,1,0] neg_lo:[0,1,0] neg_hi:[0,1,0]
	v_alignbit_b32 v173, s0, v171, 16
	s_delay_alu instid0(VALU_DEP_2) | instskip(SKIP_2) | instid1(VALU_DEP_4)
	v_pk_add_f16 v60, v170, v60
	v_pk_mul_f16 v170, 0xb8d2, v38 op_sel_hi:[0,1]
	v_pk_add_f16 v33, v171, v33
	v_pk_add_f16 v172, v173, v172
	s_delay_alu instid0(VALU_DEP_3) | instskip(SKIP_1) | instid1(VALU_DEP_2)
	v_pk_fma_f16 v171, 0xba62, v37, v170 op_sel:[0,0,1] op_sel_hi:[0,1,0]
	v_pk_fma_f16 v170, 0xba62, v37, v170 op_sel:[0,0,1] op_sel_hi:[0,1,0] neg_lo:[0,1,0] neg_hi:[0,1,0]
	v_alignbit_b32 v173, s0, v171, 16
	s_delay_alu instid0(VALU_DEP_2) | instskip(SKIP_2) | instid1(VALU_DEP_4)
	v_pk_add_f16 v60, v170, v60
	v_pk_mul_f16 v170, 0x3722, v41 op_sel_hi:[0,1]
	v_pk_add_f16 v33, v171, v33
	v_pk_add_f16 v172, v173, v172
	s_delay_alu instid0(VALU_DEP_3) | instskip(SKIP_1) | instid1(VALU_DEP_2)
	v_pk_fma_f16 v171, 0x3b29, v45, v170 op_sel:[0,0,1] op_sel_hi:[0,1,0]
	v_pk_fma_f16 v170, 0x3b29, v45, v170 op_sel:[0,0,1] op_sel_hi:[0,1,0] neg_lo:[0,1,0] neg_hi:[0,1,0]
	v_alignbit_b32 v173, s0, v171, 16
	s_delay_alu instid0(VALU_DEP_2) | instskip(SKIP_2) | instid1(VALU_DEP_4)
	v_pk_add_f16 v60, v170, v60
	v_pk_mul_f16 v170, 0xb461, v42 op_sel_hi:[0,1]
	v_pk_add_f16 v33, v171, v33
	v_pk_add_f16 v172, v173, v172
	s_delay_alu instid0(VALU_DEP_3) | instskip(SKIP_1) | instid1(VALU_DEP_2)
	v_pk_fma_f16 v171, 0xbbb2, v46, v170 op_sel:[0,0,1] op_sel_hi:[0,1,0]
	v_pk_fma_f16 v170, 0xbbb2, v46, v170 op_sel:[0,0,1] op_sel_hi:[0,1,0] neg_lo:[0,1,0] neg_hi:[0,1,0]
	v_alignbit_b32 v173, s0, v171, 16
	s_delay_alu instid0(VALU_DEP_2) | instskip(SKIP_2) | instid1(VALU_DEP_4)
	v_pk_add_f16 v60, v170, v60
	v_pk_mul_f16 v170, 0x2de8, v176 op_sel_hi:[0,1]
	v_pk_add_f16 v33, v171, v33
	v_pk_add_f16 v172, v173, v172
	s_delay_alu instid0(VALU_DEP_3) | instskip(SKIP_1) | instid1(VALU_DEP_2)
	v_pk_fma_f16 v171, 0x3bf7, v175, v170 op_sel:[0,0,1] op_sel_hi:[0,1,0]
	v_pk_fma_f16 v170, 0x3bf7, v175, v170 op_sel:[0,0,1] op_sel_hi:[0,1,0] neg_lo:[0,1,0] neg_hi:[0,1,0]
	v_alignbit_b32 v173, s0, v171, 16
	s_delay_alu instid0(VALU_DEP_2) | instskip(SKIP_1) | instid1(VALU_DEP_3)
	v_pk_add_f16 v60, v170, v60
	v_pk_add_f16 v33, v171, v33
	;; [unrolled: 1-line block ×3, first 2 shown]
	s_delay_alu instid0(VALU_DEP_2) | instskip(NEXT) | instid1(VALU_DEP_2)
	v_alignbit_b32 v33, v33, v60, 16
	v_pack_b32_f16 v60, v172, v60
	ds_store_2addr_b32 v43, v60, v33 offset0:8 offset1:9
	v_fma_f16 v33, v133, 0xbbdd, -v57
	v_fma_f16 v60, v131, 0xb461, -v198
	v_add_f16_e64 v57, v142, v77
	s_delay_alu instid0(VALU_DEP_3) | instskip(SKIP_1) | instid1(VALU_DEP_3)
	v_add_f16_e32 v33, v33, v50
	v_add_f16_e64 v50, v142, v64
	v_add_f16_e64 v57, v197, v57
	v_fma_f16 v64, v131, 0xbbdd, -v151
	s_delay_alu instid0(VALU_DEP_4) | instskip(SKIP_3) | instid1(VALU_DEP_3)
	v_add_f16_e32 v33, v60, v33
	v_fma_f16 v60, v131, 0x39e9, -v200
	v_add_f16_e32 v50, v68, v50
	v_add_f16_e64 v57, v201, v57
	v_add_f16_e32 v55, v60, v55
	v_fma_f16 v60, v40, 0x3b76, -v202
	s_delay_alu instid0(VALU_DEP_4) | instskip(NEXT) | instid1(VALU_DEP_4)
	v_add_f16_e64 v50, v199, v50
	v_add_f16_e64 v57, v205, v57
	s_delay_alu instid0(VALU_DEP_3) | instskip(SKIP_1) | instid1(VALU_DEP_4)
	v_add_f16_e32 v33, v60, v33
	v_fma_f16 v60, v40, 0x3722, -v204
	v_add_f16_e64 v50, v203, v50
	s_delay_alu instid0(VALU_DEP_4) | instskip(NEXT) | instid1(VALU_DEP_3)
	v_add_f16_e64 v57, v209, v57
	v_add_f16_e32 v55, v60, v55
	v_fma_f16 v60, v38, 0x3722, -v206
	s_delay_alu instid0(VALU_DEP_4) | instskip(NEXT) | instid1(VALU_DEP_4)
	v_add_f16_e64 v50, v207, v50
	v_add_f16_e64 v57, v213, v57
	s_delay_alu instid0(VALU_DEP_3) | instskip(SKIP_1) | instid1(VALU_DEP_4)
	v_add_f16_e32 v33, v60, v33
	v_fma_f16 v60, v38, 0xbbdd, -v208
	v_add_f16_e64 v50, v211, v50
	s_delay_alu instid0(VALU_DEP_4) | instskip(NEXT) | instid1(VALU_DEP_3)
	v_add_f16_e64 v57, v217, v57
	v_add_f16_e32 v55, v60, v55
	v_fma_f16 v60, v41, 0xbacd, -v210
	s_delay_alu instid0(VALU_DEP_4) | instskip(NEXT) | instid1(VALU_DEP_4)
	v_add_f16_e64 v50, v215, v50
	v_add_f16_e64 v57, v220, v57
	s_delay_alu instid0(VALU_DEP_3) | instskip(SKIP_1) | instid1(VALU_DEP_4)
	v_add_f16_e32 v33, v60, v33
	v_fma_f16 v60, v41, 0x2de8, -v212
	v_add_f16_e64 v50, v221, v50
	s_delay_alu instid0(VALU_DEP_2) | instskip(SKIP_1) | instid1(VALU_DEP_1)
	v_add_f16_e32 v55, v60, v55
	v_fma_f16 v60, v42, 0xb8d2, -v214
	v_add_f16_e32 v33, v60, v33
	v_fma_f16 v60, v42, 0x3b76, -v216
	s_delay_alu instid0(VALU_DEP_1) | instskip(SKIP_1) | instid1(VALU_DEP_1)
	v_add_f16_e32 v55, v60, v55
	v_fma_f16 v60, v176, 0x39e9, -v218
	v_add_f16_e32 v33, v60, v33
	v_fma_f16 v60, v176, 0xb8d2, -v219
	s_delay_alu instid0(VALU_DEP_2) | instskip(NEXT) | instid1(VALU_DEP_2)
	v_pack_b32_f16 v33, v33, v50
	v_add_f16_e32 v55, v60, v55
	v_fma_f16 v60, v131, 0xb8d2, -v149
	s_delay_alu instid0(VALU_DEP_2)
	v_pack_b32_f16 v50, v55, v57
	ds_store_2addr_b32 v43, v53, v51 offset0:10 offset1:11
	v_add_f16_e64 v51, v142, v141
	v_add_f16_e64 v53, v142, v147
	v_fma_f16 v55, v133, 0x2de8, -v139
	ds_store_2addr_b32 v43, v50, v33 offset0:12 offset1:13
	v_fma_f16 v57, v133, 0xb8d2, -v143
	v_add_f16_e64 v51, v140, v51
	v_add_f16_e64 v53, v144, v53
	v_add_f16_e32 v55, v55, v72
	v_bfi_b32 v33, 0xffff, v35, v34
	v_add_f16_e32 v57, v57, v83
	v_add_f16_e64 v51, v148, v51
	v_add_f16_e64 v53, v150, v53
	v_add_f16_e32 v55, v60, v55
	v_fma_f16 v60, v40, 0xbbdd, -v153
	v_add_f16_e32 v57, v64, v57
	v_fma_f16 v40, v40, 0xb461, -v155
	v_pk_add_f16 v33, v33, v62
	v_bfi_b32 v34, 0xffff, v129, v36
	v_add_f16_e32 v39, v60, v55
	v_add_f16_e64 v51, v152, v51
	v_add_f16_e32 v40, v40, v57
	v_add_f16_e64 v53, v154, v53
	v_fma_f16 v55, v38, 0xbacd, -v159
	v_fma_f16 v38, v38, 0x39e9, -v161
	v_pk_add_f16 v33, v34, v33
	v_bfi_b32 v34, 0xffff, v135, v134
	v_add_nc_u32_e32 v35, 0xa00, v47
	v_add_f16_e32 v37, v55, v39
	v_add_f16_e64 v39, v158, v51
	v_add_f16_e32 v38, v38, v40
	v_add_f16_e64 v40, v160, v53
	v_fma_f16 v51, v41, 0xb461, -v163
	v_fma_f16 v41, v41, 0x3b76, -v165
	v_pk_add_f16 v33, v34, v33
	v_bfi_b32 v34, 0xffff, v138, v137
	v_add_f16_e64 v39, v162, v39
	v_add_f16_e32 v37, v51, v37
	v_add_f16_e32 v38, v41, v38
	v_add_f16_e64 v40, v164, v40
	v_fma_f16 v41, v42, 0x3722, -v167
	v_fma_f16 v42, v42, 0x2de8, -v168
	v_pk_add_f16 v33, v34, v33
	v_bfi_b32 v34, 0xffff, v146, v145
	v_add_f16_e64 v39, v166, v39
	v_add_f16_e32 v37, v41, v37
	v_add_f16_e32 v38, v42, v38
	v_add_f16_e64 v40, v169, v40
	v_fma_f16 v41, v176, 0x3b76, -v177
	v_fma_f16 v42, v176, 0xbacd, -v181
	v_pk_add_f16 v33, v34, v33
	v_bfi_b32 v34, 0xffff, v157, v156
	v_add_f16_e64 v131, v178, v39
	v_add_f16_e64 v130, v41, v37
	v_add_f16_e32 v37, v42, v38
	v_add_f16_e64 v38, v182, v40
	v_pk_add_f16 v33, v34, v33
	v_bfi_b32 v34, 0xffff, v180, v179
	s_delay_alu instid0(VALU_DEP_3) | instskip(SKIP_1) | instid1(VALU_DEP_3)
	v_pack_b32_f16 v37, v37, v38
	v_pack_b32_f16 v38, v130, v131
	v_pk_add_f16 v129, v34, v33
	v_add_nc_u32_e32 v33, 0x200, v47
	ds_store_2addr_b32 v43, v37, v38 offset0:14 offset1:15
	ds_store_b32 v43, v129 offset:64
	global_wb scope:SCOPE_SE
	s_wait_dscnt 0x0
	s_barrier_signal -1
	s_barrier_wait -1
	global_inv scope:SCOPE_SE
	ds_load_2addr_b32 v[33:34], v33 offset0:42 offset1:161
	ds_load_2addr_b32 v[45:46], v44 offset0:66 offset1:151
	;; [unrolled: 1-line block ×6, first 2 shown]
	ds_load_b32 v127, v47 offset:5304
	ds_load_2addr_b32 v[35:36], v47 offset1:85
	v_lshrrev_b32_e32 v126, 16, v129
	s_and_saveexec_b32 s0, vcc_lo
	s_cbranch_execz .LBB0_7
; %bb.6:
	ds_load_b32 v130, v47 offset:1020
	ds_load_b32 v129, v47 offset:2176
	;; [unrolled: 1-line block ×5, first 2 shown]
	s_wait_dscnt 0x4
	v_lshrrev_b32_e32 v131, 16, v130
	s_wait_dscnt 0x3
	v_lshrrev_b32_e32 v126, 16, v129
	;; [unrolled: 2-line block ×5, first 2 shown]
.LBB0_7:
	s_wait_alu 0xfffe
	s_or_b32 exec_lo, exec_lo, s0
	s_wait_dscnt 0x7
	v_lshrrev_b32_e32 v51, 16, v34
	s_wait_dscnt 0x5
	v_lshrrev_b32_e32 v55, 16, v40
	v_lshrrev_b32_e32 v53, 16, v45
	s_wait_dscnt 0x4
	v_lshrrev_b32_e32 v57, 16, v43
	s_wait_dscnt 0x3
	v_lshrrev_b32_e32 v62, 16, v41
	v_mul_f16_e64 v128, v109, v51
	v_mul_f16_e64 v133, v106, v55
	s_wait_dscnt 0x2
	v_lshrrev_b32_e32 v66, 16, v37
	v_mul_f16_e32 v109, v109, v34
	v_mul_f16_e64 v132, v108, v53
	v_mul_f16_e32 v108, v108, v45
	v_fmac_f16_e64 v128, v12, v34
	v_fmac_f16_e64 v133, v14, v40
	v_mul_f16_e32 v34, v106, v40
	v_mul_f16_e32 v40, v105, v57
	v_lshrrev_b32_e32 v64, 16, v46
	v_lshrrev_b32_e32 v68, 16, v44
	v_fma_f16 v12, v12, v51, -v109
	v_fmac_f16_e64 v132, v13, v45
	v_fma_f16 v13, v13, v53, -v108
	v_mul_f16_e32 v45, v105, v43
	v_mul_f16_e32 v51, v107, v62
	v_mul_f16_e32 v53, v107, v41
	v_fmac_f16_e32 v40, v15, v43
	v_mul_f16_e32 v43, v103, v66
	v_lshrrev_b32_e32 v72, 16, v42
	v_lshrrev_b32_e32 v75, 16, v39
	v_fma_f16 v14, v14, v55, -v34
	v_fma_f16 v15, v15, v57, -v45
	v_fmac_f16_e32 v51, v8, v41
	v_fma_f16 v8, v8, v62, -v53
	v_mul_f16_e32 v34, v104, v64
	v_mul_f16_e32 v41, v104, v46
	;; [unrolled: 1-line block ×4, first 2 shown]
	v_fmac_f16_e32 v43, v10, v37
	v_mul_f16_e32 v37, v102, v44
	v_lshrrev_b32_e32 v77, 16, v38
	v_fmac_f16_e32 v34, v9, v46
	v_fma_f16 v9, v9, v64, -v41
	v_fma_f16 v10, v10, v66, -v45
	v_fmac_f16_e32 v53, v11, v44
	v_mul_f16_e32 v41, v101, v72
	v_mul_f16_e32 v45, v100, v75
	;; [unrolled: 1-line block ×3, first 2 shown]
	v_fma_f16 v11, v11, v68, -v37
	v_add_f16_e64 v37, v132, v133
	s_wait_dscnt 0x1
	v_lshrrev_b32_e32 v83, 16, v127
	v_mul_f16_e32 v44, v101, v42
	v_fmac_f16_e32 v41, v4, v42
	v_fmac_f16_e32 v45, v5, v39
	v_fma_f16 v5, v5, v75, -v46
	v_mul_f16_e32 v39, v99, v77
	v_mul_f16_e32 v42, v99, v38
	s_wait_dscnt 0x0
	v_add_f16_e64 v46, v35, v128
	v_fma_f16 v37, -0.5, v37, v35
	v_sub_f16_e32 v55, v12, v15
	v_lshrrev_b32_e32 v50, 16, v35
	v_fma_f16 v4, v4, v72, -v44
	v_mul_f16_e32 v44, v98, v83
	v_fmac_f16_e32 v39, v6, v38
	v_fma_f16 v6, v6, v77, -v42
	v_add_f16_e64 v38, v46, v132
	v_fmamk_f16 v42, v55, 0xbb9c, v37
	v_sub_f16_e32 v46, v13, v14
	v_sub_f16_e64 v57, v128, v132
	v_sub_f16_e64 v62, v40, v133
	v_add_f16_e64 v64, v128, v40
	v_mul_f16_e32 v66, v98, v127
	v_fmac_f16_e32 v37, 0x3b9c, v55
	v_fmac_f16_e32 v44, v7, v127
	v_add_f16_e64 v38, v38, v133
	v_fmac_f16_e32 v42, 0xb8b4, v46
	v_add_f16_e32 v57, v57, v62
	v_fma_f16 v35, -0.5, v64, v35
	v_fma_f16 v7, v7, v83, -v66
	v_sub_f16_e64 v64, v132, v128
	v_sub_f16_e64 v66, v133, v40
	v_fmac_f16_e32 v37, 0x38b4, v46
	v_add_f16_e32 v68, v50, v12
	v_add_f16_e32 v72, v13, v14
	;; [unrolled: 1-line block ×3, first 2 shown]
	v_fmac_f16_e32 v42, 0x34f2, v57
	v_fmamk_f16 v62, v46, 0x3b9c, v35
	v_add_f16_e32 v64, v64, v66
	v_fmac_f16_e32 v35, 0xbb9c, v46
	v_add_f16_e32 v46, v68, v13
	v_fma_f16 v66, -0.5, v72, v50
	v_sub_f16_e64 v40, v128, v40
	v_fmac_f16_e32 v37, 0x34f2, v57
	v_add_f16_e32 v57, v12, v15
	v_sub_f16_e32 v72, v12, v13
	v_sub_f16_e32 v12, v13, v12
	;; [unrolled: 1-line block ×3, first 2 shown]
	v_fmac_f16_e32 v62, 0xb8b4, v55
	v_fmac_f16_e32 v35, 0x38b4, v55
	v_add_f16_e32 v46, v46, v14
	v_fmamk_f16 v55, v40, 0x3b9c, v66
	v_sub_f16_e64 v68, v132, v133
	v_sub_f16_e32 v75, v15, v14
	v_fmac_f16_e32 v50, -0.5, v57
	v_fmac_f16_e32 v66, 0xbb9c, v40
	v_add_f16_e32 v14, v34, v43
	v_add_f16_e32 v12, v12, v13
	;; [unrolled: 1-line block ×3, first 2 shown]
	v_lshrrev_b32_e32 v60, 16, v36
	v_fmac_f16_e32 v62, 0x34f2, v64
	v_fmac_f16_e32 v35, 0x34f2, v64
	v_add_f16_e32 v46, v46, v15
	v_fmac_f16_e32 v55, 0x38b4, v68
	v_add_f16_e32 v57, v72, v75
	v_fmamk_f16 v64, v68, 0xbb9c, v50
	v_fmac_f16_e32 v66, 0xb8b4, v68
	v_fma_f16 v14, -0.5, v14, v36
	v_sub_f16_e32 v15, v8, v11
	v_fmac_f16_e32 v50, 0x3b9c, v68
	v_add_f16_e32 v13, v13, v34
	v_sub_f16_e32 v72, v51, v34
	v_sub_f16_e32 v75, v53, v43
	v_add_f16_e32 v77, v51, v53
	v_fmac_f16_e32 v55, 0x34f2, v57
	v_fmac_f16_e32 v64, 0x38b4, v40
	;; [unrolled: 1-line block ×3, first 2 shown]
	v_fmamk_f16 v57, v15, 0xbb9c, v14
	v_sub_f16_e32 v68, v9, v10
	v_fmac_f16_e32 v50, 0xb8b4, v40
	v_add_f16_e32 v13, v13, v43
	v_add_f16_e32 v40, v72, v75
	v_fmac_f16_e32 v36, -0.5, v77
	v_fmac_f16_e32 v14, 0x3b9c, v15
	v_sub_f16_e32 v72, v34, v51
	v_sub_f16_e32 v75, v43, v53
	v_add_f16_e32 v77, v60, v8
	v_add_f16_e32 v83, v9, v10
	v_fmac_f16_e32 v64, 0x34f2, v12
	v_fmac_f16_e32 v57, 0xb8b4, v68
	;; [unrolled: 1-line block ×3, first 2 shown]
	v_add_f16_e32 v12, v13, v53
	v_fmamk_f16 v13, v68, 0x3b9c, v36
	v_fmac_f16_e32 v14, 0x38b4, v68
	v_add_f16_e32 v72, v72, v75
	v_fmac_f16_e32 v36, 0xbb9c, v68
	v_add_f16_e32 v68, v77, v9
	v_fma_f16 v75, -0.5, v83, v60
	v_sub_f16_e32 v51, v51, v53
	v_add_f16_e32 v53, v8, v11
	v_fmac_f16_e32 v57, 0x34f2, v40
	v_fmac_f16_e32 v13, 0xb8b4, v15
	;; [unrolled: 1-line block ×4, first 2 shown]
	v_add_f16_e32 v15, v68, v10
	v_fmamk_f16 v40, v51, 0x3b9c, v75
	v_sub_f16_e32 v34, v34, v43
	v_sub_f16_e32 v43, v8, v9
	;; [unrolled: 1-line block ×3, first 2 shown]
	v_fmac_f16_e32 v60, -0.5, v53
	v_fmac_f16_e32 v75, 0xbb9c, v51
	v_sub_f16_e32 v8, v9, v8
	v_sub_f16_e32 v9, v10, v11
	v_add_f16_e32 v10, v45, v39
	v_add_f16_e32 v15, v15, v11
	v_fmac_f16_e32 v40, 0x38b4, v34
	v_add_f16_e32 v43, v43, v68
	v_fmamk_f16 v53, v34, 0xbb9c, v60
	v_fmac_f16_e32 v75, 0xb8b4, v34
	v_add_f16_e32 v8, v8, v9
	v_fmac_f16_e32 v60, 0x3b9c, v34
	v_add_f16_e32 v9, v33, v41
	v_fma_f16 v10, -0.5, v10, v33
	v_sub_f16_e32 v11, v4, v7
	v_fmac_f16_e32 v13, 0x34f2, v72
	v_fmac_f16_e32 v36, 0x34f2, v72
	;; [unrolled: 1-line block ×6, first 2 shown]
	v_add_f16_e32 v9, v9, v45
	v_fmamk_f16 v34, v11, 0xbb9c, v10
	v_sub_f16_e32 v43, v5, v6
	v_sub_f16_e32 v51, v41, v45
	;; [unrolled: 1-line block ×3, first 2 shown]
	v_fmac_f16_e32 v10, 0x3b9c, v11
	v_add_f16_e32 v72, v41, v44
	v_lshrrev_b32_e32 v70, 16, v33
	v_add_f16_e32 v9, v9, v39
	v_fmac_f16_e32 v34, 0xb8b4, v43
	v_add_f16_e32 v51, v51, v68
	v_fmac_f16_e32 v10, 0x38b4, v43
	v_fmac_f16_e32 v33, -0.5, v72
	v_sub_f16_e32 v68, v45, v41
	v_sub_f16_e32 v72, v39, v44
	v_fmac_f16_e32 v53, 0x34f2, v8
	v_fmac_f16_e32 v60, 0x34f2, v8
	v_add_f16_e32 v8, v9, v44
	v_fmac_f16_e32 v34, 0x34f2, v51
	v_fmac_f16_e32 v10, 0x34f2, v51
	v_fmamk_f16 v9, v43, 0x3b9c, v33
	v_add_f16_e32 v51, v5, v6
	v_fmac_f16_e32 v33, 0xbb9c, v43
	v_sub_f16_e32 v41, v41, v44
	v_add_f16_e32 v44, v68, v72
	v_add_f16_e32 v68, v4, v7
	;; [unrolled: 1-line block ×3, first 2 shown]
	v_fma_f16 v51, -0.5, v51, v70
	v_fmac_f16_e32 v9, 0xb8b4, v11
	v_fmac_f16_e32 v33, 0x38b4, v11
	v_sub_f16_e32 v39, v45, v39
	v_fmac_f16_e32 v70, -0.5, v68
	v_add_f16_e32 v11, v43, v5
	v_fmamk_f16 v43, v41, 0x3b9c, v51
	v_fmac_f16_e32 v9, 0x34f2, v44
	v_fmac_f16_e32 v33, 0x34f2, v44
	v_sub_f16_e32 v44, v4, v5
	v_sub_f16_e32 v45, v7, v6
	v_fmac_f16_e32 v51, 0xbb9c, v41
	v_fmamk_f16 v68, v39, 0xbb9c, v70
	v_sub_f16_e32 v4, v5, v4
	v_sub_f16_e32 v5, v6, v7
	v_fmac_f16_e32 v70, 0x3b9c, v39
	v_add_f16_e32 v11, v11, v6
	v_fmac_f16_e32 v43, 0x38b4, v39
	v_add_f16_e32 v6, v44, v45
	v_fmac_f16_e32 v51, 0xb8b4, v39
	v_fmac_f16_e32 v68, 0x38b4, v41
	v_add_f16_e32 v4, v4, v5
	v_fmac_f16_e32 v70, 0xb8b4, v41
	v_fmac_f16_e32 v43, 0x34f2, v6
	;; [unrolled: 1-line block ×3, first 2 shown]
	v_pack_b32_f16 v6, v42, v55
	v_fmac_f16_e32 v68, 0x34f2, v4
	v_fmac_f16_e32 v70, 0x34f2, v4
	v_pack_b32_f16 v4, v38, v46
	v_add_f16_e32 v5, v11, v7
	v_pack_b32_f16 v7, v62, v64
	v_pack_b32_f16 v11, v35, v50
	;; [unrolled: 1-line block ×5, first 2 shown]
	global_wb scope:SCOPE_SE
	s_barrier_signal -1
	s_barrier_wait -1
	global_inv scope:SCOPE_SE
	ds_store_2addr_b32 v89, v4, v6 offset1:17
	ds_store_2addr_b32 v89, v7, v11 offset0:34 offset1:51
	ds_store_b32 v89, v35 offset:272
	ds_store_2addr_b32 v86, v12, v15 offset1:17
	v_pack_b32_f16 v4, v13, v53
	v_pack_b32_f16 v6, v36, v60
	;; [unrolled: 1-line block ×8, first 2 shown]
	ds_store_2addr_b32 v86, v4, v6 offset0:34 offset1:51
	ds_store_b32 v86, v7 offset:272
	ds_store_2addr_b32 v85, v5, v8 offset1:17
	ds_store_2addr_b32 v85, v9, v11 offset0:34 offset1:51
	ds_store_b32 v85, v10 offset:272
	s_and_saveexec_b32 s0, vcc_lo
	s_cbranch_execz .LBB0_9
; %bb.8:
	v_mul_f16_e64 v5, v87, v129
	v_mul_f16_e32 v7, v88, v94
	v_mul_f16_e32 v4, v91, v95
	;; [unrolled: 1-line block ×4, first 2 shown]
	v_fma_f16 v5, v0, v126, -v5
	v_mul_f16_e32 v9, v90, v93
	v_fma_f16 v7, v3, v96, -v7
	v_fma_f16 v4, v1, v97, -v4
	;; [unrolled: 1-line block ×3, first 2 shown]
	v_fmac_f16_e32 v8, v1, v95
	v_fmac_f16_e32 v9, v2, v92
	v_mul_f16_e32 v1, v87, v126
	v_mul_f16_e32 v2, v88, v96
	v_add_f16_e32 v12, v5, v7
	v_sub_f16_e32 v10, v4, v5
	v_sub_f16_e32 v11, v6, v7
	;; [unrolled: 1-line block ×3, first 2 shown]
	v_fmac_f16_e64 v1, v0, v129
	v_fmac_f16_e32 v2, v3, v94
	v_fma_f16 v3, -0.5, v12, v131
	v_add_f16_e32 v10, v10, v11
	v_add_f16_e32 v0, v4, v6
	v_sub_f16_e32 v14, v5, v4
	v_sub_f16_e32 v11, v1, v2
	v_fmamk_f16 v12, v13, 0x3b9c, v3
	v_fmac_f16_e32 v3, 0xbb9c, v13
	v_sub_f16_e32 v15, v7, v6
	v_fma_f16 v0, -0.5, v0, v131
	v_sub_f16_e32 v34, v9, v2
	v_fmac_f16_e32 v12, 0xb8b4, v11
	v_fmac_f16_e32 v3, 0x38b4, v11
	v_add_f16_e32 v14, v14, v15
	v_add_f16_e32 v15, v1, v2
	v_fmamk_f16 v33, v11, 0xbb9c, v0
	v_fmac_f16_e32 v12, 0x34f2, v10
	v_fmac_f16_e32 v3, 0x34f2, v10
	v_add_f16_e64 v10, v131, v5
	v_fmac_f16_e32 v0, 0x3b9c, v11
	v_fma_f16 v11, -0.5, v15, v130
	v_sub_f16_e32 v15, v4, v6
	v_sub_f16_e32 v5, v5, v7
	v_add_f16_e32 v4, v10, v4
	v_sub_f16_e32 v10, v8, v1
	v_fmac_f16_e32 v33, 0xb8b4, v13
	v_fmac_f16_e32 v0, 0x38b4, v13
	v_sub_f16_e32 v13, v2, v9
	v_add_f16_e32 v4, v4, v6
	v_add_f16_e32 v6, v8, v9
	v_fmac_f16_e32 v33, 0x34f2, v14
	v_fmac_f16_e32 v0, 0x34f2, v14
	v_fmamk_f16 v35, v15, 0xbb9c, v11
	v_add_f16_e32 v4, v4, v7
	v_add_f16_e64 v7, v130, v1
	v_sub_f16_e32 v1, v1, v8
	v_fma_f16 v6, -0.5, v6, v130
	v_fmac_f16_e32 v11, 0x3b9c, v15
	v_add_f16_e32 v10, v10, v34
	v_add_f16_e32 v7, v7, v8
	scratch_load_b32 v8, off, off th:TH_LOAD_LU ; 4-byte Folded Reload
	v_fmamk_f16 v14, v5, 0x3b9c, v6
	v_fmac_f16_e32 v6, 0xbb9c, v5
	v_add_f16_e32 v1, v1, v13
	v_add_f16_e32 v7, v7, v9
	v_fmac_f16_e32 v35, 0x38b4, v5
	v_fmac_f16_e32 v11, 0xb8b4, v5
	;; [unrolled: 1-line block ×4, first 2 shown]
	v_add_f16_e32 v2, v7, v2
	v_fmac_f16_e32 v35, 0x34f2, v10
	v_fmac_f16_e32 v11, 0x34f2, v10
	;; [unrolled: 1-line block ×4, first 2 shown]
	v_pack_b32_f16 v2, v2, v4
	v_pack_b32_f16 v4, v35, v12
	;; [unrolled: 1-line block ×4, first 2 shown]
	s_wait_loadcnt 0x0
	v_mad_u16 v8, 0x55, v8, v84
	s_delay_alu instid0(VALU_DEP_1) | instskip(NEXT) | instid1(VALU_DEP_1)
	v_and_b32_e32 v5, 0xffff, v8
	v_lshlrev_b32_e32 v1, 2, v5
	v_pack_b32_f16 v5, v14, v33
	ds_store_2addr_b32 v1, v2, v0 offset1:17
	ds_store_2addr_b32 v1, v3, v4 offset0:34 offset1:51
	ds_store_b32 v1, v5 offset:272
.LBB0_9:
	s_wait_alu 0xfffe
	s_or_b32 exec_lo, exec_lo, s0
	global_wb scope:SCOPE_SE
	s_wait_dscnt 0x0
	s_barrier_signal -1
	s_barrier_wait -1
	global_inv scope:SCOPE_SE
	ds_load_2addr_b32 v[35:36], v47 offset1:85
	ds_load_2addr_b32 v[6:7], v47 offset0:170 offset1:255
	v_add_nc_u32_e32 v5, 0x400, v47
	v_add_nc_u32_e32 v4, 0x600, v47
	;; [unrolled: 1-line block ×5, first 2 shown]
	ds_load_2addr_b32 v[8:9], v5 offset0:84 offset1:169
	ds_load_2addr_b32 v[10:11], v4 offset0:126 offset1:211
	ds_load_2addr_b32 v[14:15], v3 offset0:168 offset1:253
	ds_load_2addr_b32 v[37:38], v2 offset0:82 offset1:167
	v_add_nc_u32_e32 v0, 0x1000, v47
	ds_load_2addr_b32 v[39:40], v1 offset0:124 offset1:209
	ds_load_2addr_b32 v[41:42], v0 offset0:166 offset1:251
	ds_load_b32 v43, v47 offset:5440
	s_mov_b32 s8, 0xda71079e
	s_mov_b32 s9, 0x3f46ad43
	s_wait_dscnt 0x8
	v_lshrrev_b32_e32 v12, 16, v36
	s_wait_dscnt 0x7
	v_lshrrev_b32_e32 v13, 16, v6
	v_lshrrev_b32_e32 v34, 16, v7
	v_mul_f16_e32 v33, v125, v36
	v_mul_f16_e32 v75, v124, v6
	;; [unrolled: 1-line block ×3, first 2 shown]
	v_lshrrev_b32_e32 v44, 16, v35
	v_mul_f16_e32 v77, v123, v34
	s_wait_dscnt 0x6
	v_lshrrev_b32_e32 v45, 16, v8
	v_lshrrev_b32_e32 v46, 16, v9
	v_fmac_f16_e32 v66, v20, v36
	v_mul_f16_e32 v36, v124, v13
	v_fma_f16 v83, v20, v12, -v33
	v_mul_f16_e32 v12, v123, v7
	v_fmac_f16_e32 v77, v22, v7
	v_mul_f16_e32 v7, v120, v9
	v_fmac_f16_e32 v36, v21, v6
	v_mul_f16_e32 v6, v121, v8
	s_wait_dscnt 0x5
	v_lshrrev_b32_e32 v50, 16, v10
	v_fma_f16 v75, v21, v13, -v75
	v_fma_f16 v84, v22, v34, -v12
	v_mul_f16_e32 v21, v120, v46
	v_fma_f16 v34, v23, v45, -v6
	v_fma_f16 v22, v16, v46, -v7
	v_mul_f16_e32 v6, v115, v10
	v_add_f16_e32 v7, v35, v66
	v_mul_f16_e32 v33, v121, v45
	v_fmac_f16_e32 v21, v16, v9
	v_lshrrev_b32_e32 v51, 16, v11
	v_fma_f16 v16, v17, v50, -v6
	v_add_f16_e32 v6, v44, v83
	v_add_f16_e32 v7, v7, v36
	v_fmac_f16_e32 v33, v23, v8
	v_mul_f16_e32 v20, v115, v50
	s_wait_dscnt 0x4
	v_lshrrev_b32_e32 v53, 16, v14
	v_add_f16_e32 v6, v6, v75
	v_add_f16_e32 v7, v7, v77
	v_mul_f16_e32 v12, v110, v51
	v_fmac_f16_e32 v20, v17, v10
	v_mul_f16_e32 v8, v110, v11
	v_add_f16_e32 v6, v6, v84
	v_add_f16_e32 v7, v7, v33
	v_lshrrev_b32_e32 v55, 16, v15
	v_fmac_f16_e32 v12, v18, v11
	v_fma_f16 v13, v18, v51, -v8
	v_add_f16_e32 v6, v6, v34
	v_add_f16_e32 v7, v7, v21
	v_mul_f16_e32 v8, v112, v53
	s_wait_dscnt 0x3
	v_lshrrev_b32_e32 v57, 16, v37
	v_mul_f16_e32 v10, v112, v14
	v_add_f16_e32 v6, v6, v22
	v_add_f16_e32 v7, v7, v20
	v_mul_f16_e32 v9, v113, v55
	v_fmac_f16_e32 v8, v19, v14
	v_lshrrev_b32_e32 v60, 16, v38
	v_add_f16_e32 v6, v6, v16
	v_add_f16_e32 v7, v7, v12
	v_fma_f16 v10, v19, v53, -v10
	v_fmac_f16_e32 v9, v28, v15
	v_mul_f16_e32 v11, v113, v15
	v_mul_f16_e32 v14, v119, v57
	v_add_f16_e32 v6, v6, v13
	v_add_f16_e32 v7, v7, v8
	s_wait_dscnt 0x2
	v_lshrrev_b32_e32 v62, 16, v39
	v_lshrrev_b32_e32 v64, 16, v40
	v_mul_f16_e32 v15, v119, v37
	v_fma_f16 v11, v28, v55, -v11
	v_fmac_f16_e32 v14, v29, v37
	v_mul_f16_e32 v17, v114, v60
	v_add_f16_e32 v6, v6, v10
	v_add_f16_e32 v7, v7, v9
	s_wait_dscnt 0x1
	v_lshrrev_b32_e32 v68, 16, v41
	v_fma_f16 v15, v29, v57, -v15
	v_mul_f16_e32 v18, v114, v38
	v_mul_f16_e32 v19, v116, v62
	v_fmac_f16_e32 v17, v30, v38
	v_mul_f16_e32 v28, v117, v64
	v_mul_f16_e32 v29, v117, v40
	v_add_f16_e32 v6, v6, v11
	v_add_f16_e32 v7, v7, v14
	v_fma_f16 v18, v30, v60, -v18
	v_fmac_f16_e32 v19, v31, v39
	v_mul_f16_e32 v23, v116, v39
	v_fmac_f16_e32 v28, v24, v40
	v_fma_f16 v24, v24, v64, -v29
	v_mul_f16_e32 v29, v118, v68
	v_add_f16_e32 v6, v6, v15
	v_add_f16_e32 v7, v7, v17
	v_mul_f16_e32 v30, v118, v41
	v_lshrrev_b32_e32 v70, 16, v42
	s_wait_dscnt 0x0
	v_lshrrev_b32_e32 v72, 16, v43
	v_fma_f16 v23, v31, v62, -v23
	v_fmac_f16_e32 v29, v25, v41
	v_add_f16_e32 v6, v6, v18
	v_add_f16_e32 v7, v7, v19
	v_fma_f16 v25, v25, v68, -v30
	v_mul_f16_e32 v30, v122, v43
	v_mul_f16_e32 v31, v111, v70
	v_add_f16_e32 v6, v6, v23
	v_add_f16_e32 v7, v7, v28
	v_mul_f16_e32 v37, v111, v42
	v_mul_f16_e32 v38, v122, v72
	v_fma_f16 v30, v27, v72, -v30
	v_fmac_f16_e32 v31, v26, v42
	v_add_f16_e32 v6, v6, v24
	v_add_f16_e32 v7, v7, v29
	v_fma_f16 v26, v26, v70, -v37
	v_fmac_f16_e32 v38, v27, v43
	v_sub_f16_e32 v27, v83, v30
	v_add_f16_e32 v6, v6, v25
	v_add_f16_e32 v7, v7, v31
	;; [unrolled: 1-line block ×4, first 2 shown]
	v_mul_f16_e32 v40, 0xb5c8, v27
	v_sub_f16_e32 v94, v75, v26
	v_add_f16_e32 v41, v6, v26
	v_sub_f16_e32 v42, v66, v38
	v_mul_f16_e32 v43, 0x3b76, v37
	v_fmamk_f16 v45, v39, 0x3b76, v40
	v_add_f16_e32 v6, v7, v38
	v_mul_f16_e32 v38, 0xb964, v27
	v_mul_f16_e32 v46, 0x39e9, v37
	v_mul_f16_e32 v50, 0xbb29, v27
	v_mul_f16_e32 v55, 0x3722, v37
	v_mul_f16_e32 v60, 0xbbf7, v27
	v_mul_f16_e32 v62, 0x2de8, v37
	v_mul_f16_e32 v68, 0xbbb2, v27
	v_mul_f16_e32 v72, 0xb461, v37
	v_mul_f16_e32 v83, 0xba62, v27
	v_mul_f16_e32 v87, 0xb8d2, v37
	v_mul_f16_e32 v89, 0xb836, v27
	v_mul_f16_e32 v90, 0xbacd, v37
	v_mul_f16_e32 v27, 0xb1e1, v27
	v_mul_f16_e32 v37, 0xbbdd, v37
	v_add_f16_e32 v96, v36, v31
	v_mul_f16_e32 v97, 0xb964, v94
	v_add_f16_e32 v26, v75, v26
	v_add_f16_e32 v7, v41, v30
	v_fmamk_f16 v30, v42, 0x35c8, v43
	v_add_f16_e32 v41, v35, v45
	v_fma_f16 v40, v39, 0x3b76, -v40
	v_fmac_f16_e32 v43, 0xb5c8, v42
	v_fmamk_f16 v45, v39, 0x39e9, v38
	v_fmamk_f16 v51, v42, 0x3964, v46
	v_fma_f16 v38, v39, 0x39e9, -v38
	v_fmac_f16_e32 v46, 0xb964, v42
	v_fmamk_f16 v53, v39, 0x3722, v50
	v_fmamk_f16 v57, v42, 0x3b29, v55
	;; [unrolled: 4-line block ×7, first 2 shown]
	v_fma_f16 v27, v39, 0xbbdd, -v27
	v_fmac_f16_e32 v37, 0xb1e1, v42
	v_sub_f16_e32 v31, v36, v31
	v_fmamk_f16 v36, v96, 0x39e9, v97
	v_mul_f16_e32 v39, 0x39e9, v26
	v_add_f16_e32 v30, v44, v30
	v_add_f16_e32 v40, v35, v40
	;; [unrolled: 1-line block ×32, first 2 shown]
	v_fmamk_f16 v37, v31, 0x3964, v39
	v_mul_f16_e32 v41, 0xbbf7, v94
	v_fma_f16 v44, v96, 0x39e9, -v97
	v_fmac_f16_e32 v39, 0xb964, v31
	v_mul_f16_e32 v75, 0x2de8, v26
	v_add_f16_e32 v30, v37, v30
	v_fmamk_f16 v37, v96, 0x2de8, v41
	v_add_f16_e32 v40, v44, v40
	v_add_f16_e32 v39, v39, v43
	v_fmamk_f16 v43, v31, 0x3bf7, v75
	v_mul_f16_e32 v44, 0xba62, v94
	v_fma_f16 v41, v96, 0x2de8, -v41
	v_fmac_f16_e32 v75, 0xbbf7, v31
	v_add_f16_e32 v37, v37, v45
	v_add_f16_e32 v43, v43, v51
	v_fmamk_f16 v45, v96, 0xb8d2, v44
	v_mul_f16_e32 v51, 0xb8d2, v26
	v_add_f16_e32 v38, v41, v38
	v_add_f16_e32 v41, v75, v46
	v_mul_f16_e32 v46, 0xb1e1, v94
	v_add_f16_e32 v45, v45, v53
	v_fmamk_f16 v53, v31, 0x3a62, v51
	v_fma_f16 v44, v96, 0xb8d2, -v44
	v_fmac_f16_e32 v51, 0xba62, v31
	v_fmamk_f16 v75, v96, 0xbbdd, v46
	v_mul_f16_e32 v95, 0xbbdd, v26
	v_add_f16_e32 v53, v53, v57
	v_add_f16_e32 v44, v44, v50
	;; [unrolled: 1-line block ×4, first 2 shown]
	v_fmamk_f16 v55, v31, 0x31e1, v95
	v_mul_f16_e32 v57, 0x3836, v94
	v_fma_f16 v46, v96, 0xbbdd, -v46
	v_fmac_f16_e32 v95, 0xb1e1, v31
	v_mul_f16_e32 v64, 0xbacd, v26
	v_add_f16_e32 v55, v55, v66
	v_fmamk_f16 v66, v96, 0xbacd, v57
	v_add_f16_e32 v46, v46, v60
	v_add_f16_e32 v60, v95, v62
	v_fmamk_f16 v62, v31, 0xb836, v64
	v_mul_f16_e32 v75, 0x3bb2, v94
	v_fma_f16 v57, v96, 0xbacd, -v57
	v_add_f16_e32 v66, v66, v70
	v_fmac_f16_e32 v64, 0x3836, v31
	v_add_f16_e32 v62, v62, v85
	v_fmamk_f16 v70, v96, 0xb461, v75
	v_mul_f16_e32 v85, 0xb461, v26
	v_add_f16_e32 v57, v57, v68
	v_mul_f16_e32 v68, 0x3b29, v94
	v_add_f16_e32 v64, v64, v72
	v_add_f16_e32 v70, v70, v86
	v_fmamk_f16 v72, v31, 0xbbb2, v85
	v_fma_f16 v75, v96, 0xb461, -v75
	v_fmac_f16_e32 v85, 0x3bb2, v31
	v_fmamk_f16 v86, v96, 0x3722, v68
	v_mul_f16_e32 v95, 0x3722, v26
	v_mul_f16_e32 v26, 0x3b76, v26
	v_add_f16_e32 v75, v75, v83
	v_add_f16_e32 v83, v85, v87
	;; [unrolled: 1-line block ×3, first 2 shown]
	v_fmamk_f16 v86, v31, 0xbb29, v95
	v_fma_f16 v68, v96, 0x3722, -v68
	v_fmac_f16_e32 v95, 0x3b29, v31
	v_mul_f16_e32 v87, 0x35c8, v94
	v_fmamk_f16 v91, v31, 0xb5c8, v26
	v_add_f16_e32 v72, v72, v88
	v_add_f16_e32 v68, v68, v89
	;; [unrolled: 1-line block ×3, first 2 shown]
	v_sub_f16_e32 v90, v84, v25
	v_add_f16_e32 v25, v84, v25
	v_fmamk_f16 v88, v96, 0x3b76, v87
	v_add_f16_e32 v42, v91, v42
	v_add_f16_e32 v91, v77, v29
	v_mul_f16_e32 v84, 0xbb29, v90
	v_fma_f16 v87, v96, 0x3b76, -v87
	v_fmac_f16_e32 v26, 0x35c8, v31
	v_sub_f16_e32 v29, v77, v29
	v_mul_f16_e32 v31, 0x3722, v25
	v_fmamk_f16 v77, v91, 0x3722, v84
	v_add_f16_e32 v27, v87, v27
	v_add_f16_e32 v26, v26, v35
	v_mul_f16_e32 v35, 0xba62, v90
	v_fmamk_f16 v87, v29, 0x3b29, v31
	v_add_f16_e32 v36, v77, v36
	v_fma_f16 v77, v91, 0x3722, -v84
	v_fmac_f16_e32 v31, 0xbb29, v29
	v_fmamk_f16 v84, v91, 0xb8d2, v35
	v_add_f16_e32 v30, v87, v30
	v_mul_f16_e32 v87, 0xb8d2, v25
	v_add_f16_e32 v40, v77, v40
	v_fma_f16 v35, v91, 0xb8d2, -v35
	v_add_f16_e32 v37, v84, v37
	v_mul_f16_e32 v84, 0xbbdd, v25
	v_fmamk_f16 v77, v29, 0x3a62, v87
	v_fmac_f16_e32 v87, 0xba62, v29
	v_add_f16_e32 v31, v31, v39
	v_mul_f16_e32 v39, 0x31e1, v90
	v_add_f16_e32 v35, v35, v38
	v_add_f16_e32 v86, v86, v92
	;; [unrolled: 1-line block ×3, first 2 shown]
	v_fmamk_f16 v41, v29, 0xb1e1, v84
	v_fmamk_f16 v92, v91, 0xbbdd, v39
	v_add_f16_e32 v43, v77, v43
	v_mul_f16_e32 v77, 0x3bb2, v90
	v_fma_f16 v39, v91, 0xbbdd, -v39
	v_fmac_f16_e32 v84, 0x31e1, v29
	v_add_f16_e32 v41, v41, v53
	v_mul_f16_e32 v53, 0xb461, v25
	v_fmamk_f16 v87, v91, 0xb461, v77
	v_add_f16_e32 v39, v39, v44
	v_add_f16_e32 v44, v84, v50
	v_mul_f16_e32 v50, 0x3964, v90
	v_fmamk_f16 v84, v29, 0xbbb2, v53
	v_add_f16_e32 v51, v87, v51
	v_fma_f16 v77, v91, 0xb461, -v77
	v_fmac_f16_e32 v53, 0x3bb2, v29
	v_fmamk_f16 v87, v91, 0x39e9, v50
	v_add_f16_e32 v55, v84, v55
	v_mul_f16_e32 v84, 0x39e9, v25
	v_add_f16_e32 v46, v77, v46
	v_add_f16_e32 v53, v53, v60
	;; [unrolled: 1-line block ×3, first 2 shown]
	v_mul_f16_e32 v66, 0xb5c8, v90
	v_fmamk_f16 v77, v29, 0xb964, v84
	v_fma_f16 v50, v91, 0x39e9, -v50
	v_fmac_f16_e32 v84, 0x3964, v29
	v_mul_f16_e32 v87, 0x3b76, v25
	v_add_f16_e32 v45, v92, v45
	v_fmamk_f16 v92, v91, 0x3b76, v66
	v_add_f16_e32 v62, v77, v62
	v_add_f16_e32 v50, v50, v57
	;; [unrolled: 1-line block ×3, first 2 shown]
	v_fmamk_f16 v64, v29, 0x35c8, v87
	v_mul_f16_e32 v77, 0xbbf7, v90
	v_fma_f16 v66, v91, 0x3b76, -v66
	v_fmac_f16_e32 v87, 0xb5c8, v29
	v_add_f16_e32 v88, v88, v93
	v_add_f16_e32 v64, v64, v72
	v_fmamk_f16 v84, v91, 0x2de8, v77
	v_add_f16_e32 v66, v66, v75
	v_add_f16_e32 v75, v87, v83
	v_mul_f16_e32 v83, 0xb836, v90
	v_mul_f16_e32 v72, 0x2de8, v25
	v_add_f16_e32 v84, v84, v85
	v_fma_f16 v77, v91, 0x2de8, -v77
	v_mul_f16_e32 v25, 0xbacd, v25
	v_fmamk_f16 v85, v91, 0xbacd, v83
	v_fmamk_f16 v87, v29, 0x3bf7, v72
	v_fmac_f16_e32 v72, 0xbbf7, v29
	v_add_f16_e32 v68, v77, v68
	v_fma_f16 v83, v91, 0xbacd, -v83
	v_add_f16_e32 v77, v85, v88
	v_sub_f16_e32 v85, v34, v24
	v_add_f16_e32 v24, v34, v24
	v_add_f16_e32 v86, v87, v86
	v_fmamk_f16 v87, v29, 0x3836, v25
	v_add_f16_e32 v34, v33, v28
	v_mul_f16_e32 v88, 0xbbf7, v85
	v_fmac_f16_e32 v25, 0xb836, v29
	v_sub_f16_e32 v28, v33, v28
	v_mul_f16_e32 v29, 0x2de8, v24
	v_add_f16_e32 v33, v87, v42
	v_fmamk_f16 v42, v34, 0x2de8, v88
	v_add_f16_e32 v27, v83, v27
	v_add_f16_e32 v25, v25, v26
	v_fmamk_f16 v26, v28, 0x3bf7, v29
	v_mul_f16_e32 v83, 0xb1e1, v85
	v_fmac_f16_e32 v29, 0xbbf7, v28
	v_add_f16_e32 v36, v42, v36
	v_fma_f16 v42, v34, 0x2de8, -v88
	v_add_f16_e32 v26, v26, v30
	v_fmamk_f16 v30, v34, 0xbbdd, v83
	v_mul_f16_e32 v87, 0xbbdd, v24
	v_add_f16_e32 v29, v29, v31
	v_mul_f16_e32 v31, 0x3bb2, v85
	v_add_f16_e32 v40, v42, v40
	v_add_f16_e32 v30, v30, v37
	v_fmamk_f16 v37, v28, 0x31e1, v87
	v_fma_f16 v42, v34, 0xbbdd, -v83
	v_fmamk_f16 v83, v34, 0xb461, v31
	v_mul_f16_e32 v88, 0xb461, v24
	v_fmac_f16_e32 v87, 0xb1e1, v28
	v_add_f16_e32 v37, v37, v43
	v_add_f16_e32 v35, v42, v35
	;; [unrolled: 1-line block ×3, first 2 shown]
	v_fmamk_f16 v43, v28, 0xbbb2, v88
	v_mul_f16_e32 v45, 0x35c8, v85
	v_fma_f16 v31, v34, 0xb461, -v31
	v_fmac_f16_e32 v88, 0x3bb2, v28
	v_mul_f16_e32 v83, 0x3b76, v24
	v_add_f16_e32 v38, v87, v38
	v_add_f16_e32 v41, v43, v41
	v_fmamk_f16 v43, v34, 0x3b76, v45
	v_add_f16_e32 v31, v31, v39
	v_add_f16_e32 v39, v88, v44
	v_fmamk_f16 v44, v28, 0xb5c8, v83
	v_mul_f16_e32 v87, 0xbb29, v85
	v_fma_f16 v45, v34, 0x3b76, -v45
	v_fmac_f16_e32 v83, 0x35c8, v28
	v_add_f16_e32 v43, v43, v51
	v_add_f16_e32 v44, v44, v55
	v_fmamk_f16 v51, v34, 0x3722, v87
	v_mul_f16_e32 v55, 0x3722, v24
	v_add_f16_e32 v45, v45, v46
	v_add_f16_e32 v46, v83, v53
	v_mul_f16_e32 v53, 0xb836, v85
	v_add_f16_e32 v70, v92, v70
	v_add_f16_e32 v51, v51, v60
	v_fmamk_f16 v60, v28, 0x3b29, v55
	v_fma_f16 v83, v34, 0x3722, -v87
	v_fmac_f16_e32 v55, 0xbb29, v28
	v_fmamk_f16 v87, v34, 0xbacd, v53
	v_mul_f16_e32 v88, 0xbacd, v24
	v_add_f16_e32 v60, v60, v62
	v_add_f16_e32 v50, v83, v50
	;; [unrolled: 1-line block ×4, first 2 shown]
	v_fmamk_f16 v62, v28, 0x3836, v88
	v_mul_f16_e32 v70, 0x3a62, v85
	v_fma_f16 v53, v34, 0xbacd, -v53
	v_mul_f16_e32 v83, 0xb8d2, v24
	v_mul_f16_e32 v85, 0x3964, v85
	v_add_f16_e32 v62, v62, v64
	v_fmamk_f16 v64, v34, 0xb8d2, v70
	v_fma_f16 v70, v34, 0xb8d2, -v70
	v_add_f16_e32 v53, v53, v66
	v_fmamk_f16 v66, v28, 0xba62, v83
	v_add_f16_e32 v72, v72, v89
	v_add_f16_e32 v64, v64, v84
	v_fmamk_f16 v84, v34, 0x39e9, v85
	v_add_f16_e32 v68, v70, v68
	v_sub_f16_e32 v70, v22, v23
	v_add_f16_e32 v66, v66, v86
	v_fmac_f16_e32 v83, 0x3a62, v28
	v_mul_f16_e32 v24, 0x39e9, v24
	v_add_f16_e32 v77, v84, v77
	v_add_f16_e32 v84, v21, v19
	v_mul_f16_e32 v86, 0xbbb2, v70
	v_add_f16_e32 v22, v22, v23
	v_fmac_f16_e32 v88, 0xb836, v28
	v_add_f16_e32 v72, v83, v72
	v_fmamk_f16 v83, v28, 0xb964, v24
	v_fma_f16 v23, v34, 0x39e9, -v85
	v_fmac_f16_e32 v24, 0x3964, v28
	v_sub_f16_e32 v19, v21, v19
	v_fmamk_f16 v21, v84, 0xb461, v86
	v_mul_f16_e32 v28, 0xb461, v22
	v_add_f16_e32 v23, v23, v27
	v_add_f16_e32 v24, v24, v25
	v_mul_f16_e32 v27, 0x3836, v70
	v_add_f16_e32 v21, v21, v36
	v_fmamk_f16 v25, v19, 0x3bb2, v28
	v_fma_f16 v34, v84, 0xb461, -v86
	v_fmac_f16_e32 v28, 0xbbb2, v19
	v_mul_f16_e32 v36, 0xbacd, v22
	v_add_f16_e32 v33, v83, v33
	v_add_f16_e32 v25, v25, v26
	v_fmamk_f16 v26, v84, 0xbacd, v27
	v_add_f16_e32 v34, v34, v40
	v_add_f16_e32 v28, v28, v29
	v_fmamk_f16 v29, v19, 0xb836, v36
	v_mul_f16_e32 v40, 0x3964, v70
	v_fma_f16 v27, v84, 0xbacd, -v27
	v_fmac_f16_e32 v36, 0x3836, v19
	v_add_f16_e32 v26, v26, v30
	v_add_f16_e32 v29, v29, v37
	v_fmamk_f16 v30, v84, 0x39e9, v40
	v_mul_f16_e32 v37, 0x39e9, v22
	v_add_f16_e32 v27, v27, v35
	v_add_f16_e32 v35, v36, v38
	v_mul_f16_e32 v36, 0xbb29, v70
	v_add_f16_e32 v30, v30, v42
	v_fmamk_f16 v38, v19, 0xb964, v37
	v_fmac_f16_e32 v37, 0x3964, v19
	v_fma_f16 v40, v84, 0x39e9, -v40
	v_fmamk_f16 v42, v84, 0x3722, v36
	v_mul_f16_e32 v83, 0x3722, v22
	v_fma_f16 v36, v84, 0x3722, -v36
	v_add_f16_e32 v37, v37, v39
	v_add_f16_e32 v38, v38, v41
	;; [unrolled: 1-line block ×3, first 2 shown]
	v_mul_f16_e32 v42, 0xbbdd, v22
	v_add_f16_e32 v31, v40, v31
	v_fmamk_f16 v40, v19, 0x3b29, v83
	v_mul_f16_e32 v41, 0xb1e1, v70
	v_fmac_f16_e32 v83, 0xbb29, v19
	v_add_f16_e32 v36, v36, v45
	v_fmamk_f16 v45, v19, 0x31e1, v42
	v_add_f16_e32 v40, v40, v44
	v_fmamk_f16 v43, v84, 0xbbdd, v41
	v_add_f16_e32 v44, v83, v46
	v_mul_f16_e32 v46, 0x3bf7, v70
	v_fmac_f16_e32 v42, 0xb1e1, v19
	v_add_f16_e32 v45, v45, v60
	v_mul_f16_e32 v60, 0x2de8, v22
	v_add_f16_e32 v75, v88, v75
	v_add_f16_e32 v43, v43, v51
	v_fma_f16 v41, v84, 0xbbdd, -v41
	v_fmamk_f16 v51, v84, 0x2de8, v46
	v_add_f16_e32 v42, v42, v55
	v_fmamk_f16 v55, v19, 0xbbf7, v60
	v_fma_f16 v46, v84, 0x2de8, -v46
	v_fmac_f16_e32 v60, 0x3bf7, v19
	v_mul_f16_e32 v83, 0x3b76, v22
	v_add_f16_e32 v41, v41, v50
	v_mul_f16_e32 v50, 0xb5c8, v70
	v_add_f16_e32 v46, v46, v53
	v_add_f16_e32 v53, v60, v75
	v_fmamk_f16 v60, v19, 0x35c8, v83
	v_mul_f16_e32 v22, 0xb8d2, v22
	v_add_f16_e32 v51, v51, v57
	v_fmamk_f16 v57, v84, 0x3b76, v50
	v_add_f16_e32 v55, v55, v62
	v_mul_f16_e32 v62, 0xba62, v70
	v_add_f16_e32 v60, v60, v66
	v_fmamk_f16 v66, v19, 0x3a62, v22
	v_sub_f16_e32 v70, v16, v18
	v_add_f16_e32 v16, v16, v18
	v_add_f16_e32 v57, v57, v64
	v_fmac_f16_e32 v83, 0xb5c8, v19
	v_fmamk_f16 v64, v84, 0xb8d2, v62
	v_add_f16_e32 v33, v66, v33
	v_add_f16_e32 v66, v20, v17
	v_fma_f16 v62, v84, 0xb8d2, -v62
	v_fmac_f16_e32 v22, 0xba62, v19
	v_sub_f16_e32 v17, v20, v17
	v_mul_f16_e32 v19, 0xb8d2, v16
	v_mul_f16_e32 v18, 0xba62, v70
	v_add_f16_e32 v23, v62, v23
	v_add_f16_e32 v22, v22, v24
	v_mul_f16_e32 v24, 0x3bb2, v70
	v_fmamk_f16 v62, v17, 0x3a62, v19
	v_fmamk_f16 v20, v66, 0xb8d2, v18
	v_fma_f16 v18, v66, 0xb8d2, -v18
	v_fmac_f16_e32 v19, 0xba62, v17
	v_fma_f16 v50, v84, 0x3b76, -v50
	v_add_f16_e32 v25, v62, v25
	v_mul_f16_e32 v62, 0xb461, v16
	v_add_f16_e32 v20, v20, v21
	v_fmamk_f16 v21, v66, 0xb461, v24
	v_add_f16_e32 v18, v18, v34
	v_add_f16_e32 v19, v19, v28
	v_fmamk_f16 v28, v17, 0xbbb2, v62
	v_mul_f16_e32 v34, 0x3b76, v16
	v_add_f16_e32 v21, v21, v26
	v_mul_f16_e32 v26, 0xb5c8, v70
	v_fma_f16 v24, v66, 0xb461, -v24
	v_fmac_f16_e32 v62, 0x3bb2, v17
	v_add_f16_e32 v28, v28, v29
	v_fmamk_f16 v29, v17, 0x35c8, v34
	v_add_f16_e32 v50, v50, v68
	v_add_f16_e32 v68, v83, v72
	v_fmamk_f16 v72, v66, 0x3b76, v26
	v_add_f16_e32 v24, v24, v27
	v_add_f16_e32 v27, v62, v35
	v_mul_f16_e32 v35, 0xb836, v70
	v_fma_f16 v26, v66, 0x3b76, -v26
	v_fmac_f16_e32 v34, 0xb5c8, v17
	v_add_f16_e32 v29, v29, v38
	v_mul_f16_e32 v38, 0xbacd, v16
	v_fmamk_f16 v62, v66, 0xbacd, v35
	v_add_f16_e32 v26, v26, v31
	v_add_f16_e32 v31, v34, v37
	v_mul_f16_e32 v34, 0x3bf7, v70
	v_fmamk_f16 v37, v17, 0x3836, v38
	v_add_f16_e32 v39, v62, v39
	v_fma_f16 v35, v66, 0xbacd, -v35
	v_fmac_f16_e32 v38, 0xb836, v17
	v_fmamk_f16 v62, v66, 0x2de8, v34
	v_add_f16_e32 v37, v37, v40
	v_mul_f16_e32 v40, 0x2de8, v16
	v_add_f16_e32 v35, v35, v36
	v_add_f16_e32 v36, v38, v44
	;; [unrolled: 1-line block ×3, first 2 shown]
	v_mul_f16_e32 v43, 0xb964, v70
	v_fmamk_f16 v44, v17, 0xbbf7, v40
	v_fma_f16 v34, v66, 0x2de8, -v34
	v_mul_f16_e32 v62, 0x39e9, v16
	v_add_f16_e32 v30, v72, v30
	v_fmac_f16_e32 v40, 0x3bf7, v17
	v_fmamk_f16 v72, v66, 0x39e9, v43
	v_add_f16_e32 v44, v44, v45
	v_add_f16_e32 v34, v34, v41
	v_fmamk_f16 v41, v17, 0x3964, v62
	v_mul_f16_e32 v45, 0xb1e1, v70
	v_fma_f16 v43, v66, 0x39e9, -v43
	v_fmac_f16_e32 v62, 0xb964, v17
	v_add_f16_e32 v40, v40, v42
	v_add_f16_e32 v42, v72, v51
	;; [unrolled: 1-line block ×3, first 2 shown]
	v_mul_f16_e32 v51, 0xbbdd, v16
	v_fmamk_f16 v55, v66, 0xbbdd, v45
	v_add_f16_e32 v43, v43, v46
	v_add_f16_e32 v46, v62, v53
	v_mul_f16_e32 v53, 0x3b29, v70
	v_add_f16_e32 v64, v64, v77
	v_fmamk_f16 v62, v17, 0x31e1, v51
	v_add_f16_e32 v55, v55, v57
	v_fma_f16 v45, v66, 0xbbdd, -v45
	v_fmac_f16_e32 v51, 0xb1e1, v17
	v_fmamk_f16 v57, v66, 0x3722, v53
	v_mul_f16_e32 v16, 0x3722, v16
	v_add_f16_e32 v60, v62, v60
	v_add_f16_e32 v45, v45, v50
	;; [unrolled: 1-line block ×4, first 2 shown]
	v_sub_f16_e32 v57, v13, v15
	v_add_f16_e32 v13, v13, v15
	v_fmamk_f16 v62, v17, 0xbb29, v16
	v_fma_f16 v53, v66, 0x3722, -v53
	v_add_f16_e32 v15, v12, v14
	v_mul_f16_e32 v64, 0xb836, v57
	v_fmac_f16_e32 v16, 0x3b29, v17
	v_sub_f16_e32 v12, v12, v14
	v_mul_f16_e32 v14, 0xbacd, v13
	v_add_f16_e32 v17, v62, v33
	v_fmamk_f16 v33, v15, 0xbacd, v64
	v_add_f16_e32 v23, v53, v23
	v_add_f16_e32 v16, v16, v22
	v_fmamk_f16 v22, v12, 0x3836, v14
	v_mul_f16_e32 v53, 0x3b29, v57
	v_fmac_f16_e32 v14, 0xb836, v12
	v_add_f16_e32 v20, v33, v20
	v_fma_f16 v33, v15, 0xbacd, -v64
	v_add_f16_e32 v22, v22, v25
	v_fmamk_f16 v25, v15, 0x3722, v53
	v_mul_f16_e32 v62, 0x3722, v13
	v_add_f16_e32 v14, v14, v19
	v_mul_f16_e32 v19, 0xbbf7, v57
	v_add_f16_e32 v18, v33, v18
	v_add_f16_e32 v21, v25, v21
	v_fmamk_f16 v25, v12, 0xbb29, v62
	v_fma_f16 v33, v15, 0x3722, -v53
	v_fmamk_f16 v53, v15, 0x2de8, v19
	v_mul_f16_e32 v64, 0x2de8, v13
	v_fmac_f16_e32 v62, 0x3b29, v12
	v_add_f16_e32 v25, v25, v28
	v_add_f16_e32 v24, v33, v24
	;; [unrolled: 1-line block ×3, first 2 shown]
	v_fmamk_f16 v30, v12, 0x3bf7, v64
	v_mul_f16_e32 v33, 0x3a62, v57
	v_fma_f16 v19, v15, 0x2de8, -v19
	v_fmac_f16_e32 v64, 0xbbf7, v12
	v_mul_f16_e32 v53, 0xb8d2, v13
	v_add_f16_e32 v27, v62, v27
	v_add_f16_e32 v29, v30, v29
	v_fmamk_f16 v30, v15, 0xb8d2, v33
	v_add_f16_e32 v19, v19, v26
	v_add_f16_e32 v26, v64, v31
	v_fmamk_f16 v31, v12, 0xba62, v53
	v_mul_f16_e32 v62, 0xb5c8, v57
	v_fma_f16 v33, v15, 0xb8d2, -v33
	v_fmac_f16_e32 v53, 0x3a62, v12
	v_add_f16_e32 v30, v30, v39
	v_add_f16_e32 v31, v31, v37
	v_fmamk_f16 v37, v15, 0x3b76, v62
	v_mul_f16_e32 v39, 0x3b76, v13
	v_add_f16_e32 v33, v33, v35
	v_add_f16_e32 v35, v53, v36
	v_mul_f16_e32 v36, 0xb1e1, v57
	v_add_f16_e32 v37, v37, v38
	v_fmamk_f16 v38, v12, 0x35c8, v39
	v_fma_f16 v53, v15, 0x3b76, -v62
	v_fmac_f16_e32 v39, 0xb5c8, v12
	v_fmamk_f16 v62, v15, 0xbbdd, v36
	v_mul_f16_e32 v64, 0xbbdd, v13
	v_add_f16_e32 v38, v38, v44
	v_add_f16_e32 v34, v53, v34
	;; [unrolled: 1-line block ×4, first 2 shown]
	v_fmamk_f16 v42, v12, 0x31e1, v64
	v_mul_f16_e32 v44, 0x3964, v57
	v_fma_f16 v36, v15, 0xbbdd, -v36
	v_fmac_f16_e32 v64, 0xb1e1, v12
	v_mul_f16_e32 v53, 0x39e9, v13
	v_add_f16_e32 v41, v42, v41
	v_fmamk_f16 v42, v15, 0x39e9, v44
	v_add_f16_e32 v36, v36, v43
	v_add_f16_e32 v43, v64, v46
	v_fmamk_f16 v46, v12, 0xb964, v53
	v_mul_f16_e32 v57, 0xbbb2, v57
	v_fma_f16 v44, v15, 0x39e9, -v44
	v_fmac_f16_e32 v53, 0x3964, v12
	v_add_f16_e32 v42, v42, v55
	v_mul_f16_e32 v13, 0xb461, v13
	v_fmamk_f16 v55, v15, 0xb461, v57
	v_add_f16_e32 v44, v44, v45
	v_add_f16_e32 v45, v53, v50
	v_sub_f16_e32 v50, v10, v11
	v_add_f16_e32 v10, v10, v11
	v_add_f16_e32 v51, v55, v51
	v_fmamk_f16 v53, v12, 0x3bb2, v13
	v_add_f16_e32 v55, v8, v9
	v_mul_f16_e32 v11, 0xb1e1, v50
	v_fmac_f16_e32 v13, 0xbbb2, v12
	v_sub_f16_e32 v8, v8, v9
	v_mul_f16_e32 v9, 0xbbdd, v10
	v_fma_f16 v15, v15, 0xb461, -v57
	v_fmamk_f16 v12, v55, 0xbbdd, v11
	v_add_f16_e32 v13, v13, v16
	v_fma_f16 v11, v55, 0xbbdd, -v11
	v_fmamk_f16 v16, v8, 0x31e1, v9
	v_fmac_f16_e32 v9, 0xb1e1, v8
	v_add_f16_e32 v12, v12, v20
	v_mul_f16_e32 v20, 0x35c8, v50
	v_add_f16_e32 v15, v15, v23
	v_add_f16_e32 v16, v16, v22
	v_mul_f16_e32 v22, 0x3b76, v10
	v_add_f16_e32 v11, v11, v18
	v_fmamk_f16 v23, v55, 0x3b76, v20
	v_add_f16_e32 v9, v9, v14
	v_mul_f16_e32 v14, 0xb836, v50
	v_fmamk_f16 v18, v8, 0xb5c8, v22
	v_fma_f16 v20, v55, 0x3b76, -v20
	v_add_f16_e32 v21, v23, v21
	v_fmac_f16_e32 v22, 0x35c8, v8
	v_fmamk_f16 v23, v55, 0xbacd, v14
	v_add_f16_e32 v18, v18, v25
	v_mul_f16_e32 v25, 0xbacd, v10
	v_add_f16_e32 v20, v20, v24
	v_add_f16_e32 v22, v22, v27
	v_add_f16_e32 v23, v23, v28
	v_mul_f16_e32 v24, 0x3964, v50
	v_fmamk_f16 v27, v8, 0x3836, v25
	v_fma_f16 v14, v55, 0xbacd, -v14
	v_fmac_f16_e32 v25, 0xb836, v8
	v_mul_f16_e32 v28, 0x39e9, v10
	v_add_f16_e32 v17, v53, v17
	v_fmamk_f16 v53, v55, 0x39e9, v24
	v_add_f16_e32 v27, v27, v29
	v_add_f16_e32 v14, v14, v19
	;; [unrolled: 1-line block ×3, first 2 shown]
	v_fmamk_f16 v25, v8, 0xb964, v28
	v_mul_f16_e32 v29, 0xba62, v50
	v_fma_f16 v24, v55, 0x39e9, -v24
	v_add_f16_e32 v26, v53, v30
	v_fmac_f16_e32 v28, 0x3964, v8
	v_add_f16_e32 v25, v25, v31
	v_mul_f16_e32 v30, 0xb8d2, v10
	v_fmamk_f16 v31, v55, 0xb8d2, v29
	v_add_f16_e32 v24, v24, v33
	v_mul_f16_e32 v33, 0x3b29, v50
	v_add_f16_e32 v28, v28, v35
	v_fmamk_f16 v35, v8, 0x3a62, v30
	v_add_f16_e32 v31, v31, v37
	v_fma_f16 v29, v55, 0xb8d2, -v29
	v_fmamk_f16 v37, v55, 0x3722, v33
	v_fmac_f16_e32 v30, 0xba62, v8
	v_add_f16_e32 v35, v35, v38
	v_mul_f16_e32 v38, 0x3722, v10
	v_add_f16_e32 v29, v29, v34
	v_add_f16_e32 v34, v37, v40
	v_mul_f16_e32 v37, 0xbbb2, v50
	v_add_f16_e32 v30, v30, v39
	v_fmamk_f16 v39, v8, 0xbb29, v38
	v_fma_f16 v33, v55, 0x3722, -v33
	v_mul_f16_e32 v40, 0xb461, v10
	v_fmamk_f16 v53, v55, 0xb461, v37
	v_add_f16_e32 v46, v46, v60
	v_fmac_f16_e32 v38, 0x3b29, v8
	v_add_f16_e32 v39, v39, v41
	v_add_f16_e32 v33, v33, v36
	v_fmamk_f16 v36, v8, 0x3bb2, v40
	v_add_f16_e32 v41, v53, v42
	v_mul_f16_e32 v42, 0x3bf7, v50
	v_mul_f16_e32 v10, 0x2de8, v10
	v_add_f16_e32 v38, v38, v43
	v_add_f16_e32 v36, v36, v46
	v_fma_f16 v37, v55, 0xb461, -v37
	v_fmamk_f16 v43, v55, 0x2de8, v42
	v_fmamk_f16 v46, v8, 0xbbf7, v10
	v_fma_f16 v42, v55, 0x2de8, -v42
	v_fmac_f16_e32 v10, 0x3bf7, v8
	v_fmac_f16_e32 v40, 0xbbb2, v8
	v_add_f16_e32 v43, v43, v51
	v_add_f16_e32 v17, v46, v17
	;; [unrolled: 1-line block ×3, first 2 shown]
	v_pack_b32_f16 v6, v6, v7
	v_pack_b32_f16 v7, v12, v16
	v_add_f16_e32 v10, v10, v13
	v_add_f16_e32 v37, v37, v44
	;; [unrolled: 1-line block ×3, first 2 shown]
	v_pack_b32_f16 v8, v21, v18
	v_pack_b32_f16 v12, v23, v27
	;; [unrolled: 1-line block ×6, first 2 shown]
	ds_store_2addr_b32 v47, v6, v7 offset1:85
	ds_store_2addr_b32 v47, v8, v12 offset0:170 offset1:255
	ds_store_2addr_b32 v5, v16, v18 offset0:84 offset1:169
	;; [unrolled: 1-line block ×3, first 2 shown]
	v_pack_b32_f16 v6, v43, v17
	v_pack_b32_f16 v7, v15, v10
	;; [unrolled: 1-line block ×9, first 2 shown]
	ds_store_2addr_b32 v3, v6, v7 offset0:168 offset1:253
	ds_store_2addr_b32 v2, v8, v10 offset0:82 offset1:167
	;; [unrolled: 1-line block ×4, first 2 shown]
	ds_store_b32 v47, v9 offset:5440
	global_wb scope:SCOPE_SE
	s_wait_dscnt 0x0
	s_barrier_signal -1
	s_barrier_wait -1
	global_inv scope:SCOPE_SE
	ds_load_2addr_b32 v[6:7], v47 offset1:85
	v_lshrrev_b32_e32 v30, 16, v73
	s_wait_dscnt 0x0
	v_lshrrev_b32_e32 v10, 16, v6
	s_delay_alu instid0(VALU_DEP_1) | instskip(NEXT) | instid1(VALU_DEP_1)
	v_mul_f16_e32 v8, v82, v10
	v_fmac_f16_e32 v8, v79, v6
	v_mul_f16_e32 v6, v82, v6
	s_delay_alu instid0(VALU_DEP_2) | instskip(NEXT) | instid1(VALU_DEP_2)
	v_cvt_f32_f16_e32 v8, v8
	v_fma_f16 v6, v79, v10, -v6
	s_delay_alu instid0(VALU_DEP_2) | instskip(NEXT) | instid1(VALU_DEP_2)
	v_cvt_f64_f32_e32 v[8:9], v8
	v_cvt_f32_f16_e32 v6, v6
	s_delay_alu instid0(VALU_DEP_1) | instskip(SKIP_1) | instid1(VALU_DEP_1)
	v_cvt_f64_f32_e32 v[10:11], v6
	v_lshrrev_b32_e32 v6, 16, v7
	v_mul_f16_e32 v12, v81, v6
	s_delay_alu instid0(VALU_DEP_1) | instskip(SKIP_1) | instid1(VALU_DEP_2)
	v_fmac_f16_e32 v12, v78, v7
	v_mul_f16_e32 v7, v81, v7
	v_cvt_f32_f16_e32 v12, v12
	s_delay_alu instid0(VALU_DEP_2) | instskip(NEXT) | instid1(VALU_DEP_2)
	v_fma_f16 v6, v78, v6, -v7
	v_cvt_f64_f32_e32 v[12:13], v12
	s_wait_alu 0xfffe
	v_mul_f64_e32 v[8:9], s[8:9], v[8:9]
	v_mul_f64_e32 v[10:11], s[8:9], v[10:11]
	s_delay_alu instid0(VALU_DEP_2) | instskip(SKIP_2) | instid1(VALU_DEP_3)
	v_and_or_b32 v8, 0x1ff, v9, v8
	v_lshrrev_b32_e32 v14, 8, v9
	v_bfe_u32 v15, v9, 20, 11
	v_cmp_ne_u32_e32 vcc_lo, 0, v8
	v_and_or_b32 v10, 0x1ff, v11, v10
	v_lshrrev_b32_e32 v17, 8, v11
	v_bfe_u32 v18, v11, 20, 11
	v_add_nc_u32_e32 v21, 0xfffffc10, v15
	s_wait_alu 0xfffd
	v_cndmask_b32_e64 v8, 0, 1, vcc_lo
	v_cmp_ne_u32_e32 vcc_lo, 0, v10
	v_lshrrev_b32_e32 v11, 16, v11
	v_add_nc_u32_e32 v25, 0xfffffc10, v18
	s_delay_alu instid0(VALU_DEP_4)
	v_and_or_b32 v20, 0xffe, v14, v8
	v_sub_nc_u32_e32 v8, 0x3f1, v15
	s_wait_alu 0xfffd
	v_cndmask_b32_e64 v10, 0, 1, vcc_lo
	v_cmp_gt_i32_e64 s1, 1, v25
	v_or_b32_e32 v14, 0x1000, v20
	v_med3_i32 v8, v8, 0, 13
	s_delay_alu instid0(VALU_DEP_4) | instskip(SKIP_2) | instid1(VALU_DEP_4)
	v_and_or_b32 v10, 0xffe, v17, v10
	v_sub_nc_u32_e32 v17, 0x3f1, v18
	v_lshl_or_b32 v15, v21, 12, v20
	v_lshrrev_b32_e32 v16, v8, v14
	s_delay_alu instid0(VALU_DEP_4) | instskip(NEXT) | instid1(VALU_DEP_4)
	v_or_b32_e32 v19, 0x1000, v10
	v_med3_i32 v17, v17, 0, 13
	s_delay_alu instid0(VALU_DEP_3) | instskip(NEXT) | instid1(VALU_DEP_2)
	v_lshlrev_b32_e32 v8, v8, v16
	v_lshrrev_b32_e32 v22, v17, v19
	s_delay_alu instid0(VALU_DEP_2)
	v_cmp_ne_u32_e32 vcc_lo, v8, v14
	v_cvt_f32_f16_e32 v14, v6
	v_mul_f64_e32 v[6:7], s[8:9], v[12:13]
	s_wait_alu 0xfffd
	v_cndmask_b32_e64 v8, 0, 1, vcc_lo
	v_cmp_gt_i32_e32 vcc_lo, 1, v21
	v_cvt_f64_f32_e32 v[12:13], v14
	s_delay_alu instid0(VALU_DEP_3) | instskip(SKIP_1) | instid1(VALU_DEP_1)
	v_or_b32_e32 v8, v16, v8
	s_wait_alu 0xfffd
	v_dual_cndmask_b32 v23, v15, v8 :: v_dual_lshlrev_b32 v8, v17, v22
	v_mad_co_u64_u32 v[14:15], null, s6, v32, 0
	ds_load_2addr_b32 v[16:17], v47 offset0:170 offset1:255
	v_and_b32_e32 v24, 7, v23
	v_cmp_ne_u32_e32 vcc_lo, v8, v19
	v_mov_b32_e32 v8, v15
	s_wait_alu 0xfffd
	v_cndmask_b32_e64 v19, 0, 1, vcc_lo
	v_cmp_lt_i32_e32 vcc_lo, 5, v24
	v_cmp_eq_u32_e64 s0, 3, v24
	s_delay_alu instid0(VALU_DEP_3)
	v_or_b32_e32 v15, v22, v19
	v_mad_co_u64_u32 v[18:19], null, s7, v32, v[8:9]
	v_lshrrev_b32_e32 v8, 2, v23
	v_lshl_or_b32 v22, v25, 12, v10
	s_or_b32 vcc_lo, s0, vcc_lo
	s_wait_alu 0xfffe
	s_delay_alu instid0(VALU_DEP_2) | instskip(NEXT) | instid1(VALU_DEP_2)
	v_add_co_ci_u32_e32 v8, vcc_lo, 0, v8, vcc_lo
	v_cndmask_b32_e64 v15, v22, v15, s1
	v_cmp_ne_u32_e32 vcc_lo, 0, v20
	s_wait_dscnt 0x0
	v_lshrrev_b32_e32 v22, 16, v16
	v_and_or_b32 v6, 0x1ff, v7, v6
	v_mul_f64_e32 v[12:13], s[8:9], v[12:13]
	v_and_b32_e32 v20, 7, v15
	s_wait_alu 0xfffd
	v_cndmask_b32_e64 v19, 0, 1, vcc_lo
	v_cmp_gt_i32_e32 vcc_lo, 31, v21
	v_lshrrev_b32_e32 v15, 2, v15
	v_lshrrev_b32_e32 v24, 8, v7
	v_cmp_eq_u32_e64 s0, 3, v20
	v_lshl_or_b32 v23, v19, 9, 0x7c00
	s_wait_alu 0xfffd
	v_cndmask_b32_e32 v8, 0x7c00, v8, vcc_lo
	v_cmp_lt_i32_e32 vcc_lo, 5, v20
	v_mul_f16_e32 v19, v80, v22
	v_bfe_u32 v26, v7, 20, 11
	s_or_b32 vcc_lo, s0, vcc_lo
	s_delay_alu instid0(VALU_DEP_2) | instskip(SKIP_3) | instid1(VALU_DEP_3)
	v_fmac_f16_e32 v19, v76, v16
	s_wait_alu 0xfffe
	v_add_co_ci_u32_e32 v15, vcc_lo, 0, v15, vcc_lo
	v_cmp_ne_u32_e32 vcc_lo, 0, v6
	v_cvt_f32_f16_e32 v19, v19
	s_wait_alu 0xfffd
	v_cndmask_b32_e64 v6, 0, 1, vcc_lo
	v_cmp_ne_u32_e32 vcc_lo, 0, v10
	s_delay_alu instid0(VALU_DEP_3) | instskip(NEXT) | instid1(VALU_DEP_3)
	v_cvt_f64_f32_e32 v[19:20], v19
	v_and_or_b32 v24, 0xffe, v24, v6
	s_wait_alu 0xfffd
	v_cndmask_b32_e64 v10, 0, 1, vcc_lo
	v_cmp_gt_i32_e32 vcc_lo, 31, v25
	v_sub_nc_u32_e32 v6, 0x3f1, v26
	v_or_b32_e32 v27, 0x1000, v24
	s_delay_alu instid0(VALU_DEP_4)
	v_lshl_or_b32 v10, v10, 9, 0x7c00
	s_wait_alu 0xfffd
	v_cndmask_b32_e32 v15, 0x7c00, v15, vcc_lo
	v_cmp_eq_u32_e32 vcc_lo, 0x40f, v21
	v_med3_i32 v6, v6, 0, 13
	v_and_or_b32 v12, 0x1ff, v13, v12
	s_wait_alu 0xfffd
	v_cndmask_b32_e32 v21, v8, v23, vcc_lo
	v_cmp_eq_u32_e32 vcc_lo, 0x40f, v25
	v_lshrrev_b32_e32 v23, 16, v9
	v_lshrrev_b32_e32 v25, v6, v27
	v_mad_co_u64_u32 v[8:9], null, s4, v74, 0
	s_wait_alu 0xfffd
	v_dual_cndmask_b32 v10, v15, v10 :: v_dual_mov_b32 v15, v18
	s_delay_alu instid0(VALU_DEP_3) | instskip(SKIP_1) | instid1(VALU_DEP_3)
	v_lshlrev_b32_e32 v18, v6, v25
	v_and_or_b32 v21, 0x8000, v23, v21
	v_and_or_b32 v23, 0x8000, v11, v10
	v_mul_f16_e32 v10, v80, v16
	v_mov_b32_e32 v6, v9
	v_cmp_ne_u32_e32 vcc_lo, v18, v27
	v_and_b32_e32 v21, 0xffff, v21
	v_lshlrev_b64_e32 v[14:15], 2, v[14:15]
	v_fma_f16 v16, v76, v22, -v10
	v_mad_co_u64_u32 v[9:10], null, s5, v74, v[6:7]
	s_wait_alu 0xfffd
	v_cndmask_b32_e64 v11, 0, 1, vcc_lo
	v_cmp_ne_u32_e32 vcc_lo, 0, v12
	v_cvt_f32_f16_e32 v10, v16
	v_add_nc_u32_e32 v22, 0xfffffc10, v26
	v_lshrrev_b32_e32 v16, 8, v13
	v_or_b32_e32 v6, v25, v11
	s_wait_alu 0xfffd
	v_cndmask_b32_e64 v12, 0, 1, vcc_lo
	v_cvt_f64_f32_e32 v[10:11], v10
	v_bfe_u32 v25, v13, 20, 11
	v_mul_f64_e32 v[18:19], s[8:9], v[19:20]
	v_lshl_or_b32 v20, v22, 12, v24
	v_and_or_b32 v12, 0xffe, v16, v12
	v_cmp_gt_i32_e32 vcc_lo, 1, v22
	v_sub_nc_u32_e32 v16, 0x3f1, v25
	v_lshl_or_b32 v21, v23, 16, v21
	v_lshrrev_b32_e32 v7, 16, v7
	v_lshlrev_b64_e32 v[8:9], 2, v[8:9]
	s_wait_alu 0xfffd
	v_cndmask_b32_e32 v6, v20, v6, vcc_lo
	v_or_b32_e32 v20, 0x1000, v12
	v_med3_i32 v16, v16, 0, 13
	v_add_co_u32 v27, vcc_lo, s2, v14
	s_delay_alu instid0(VALU_DEP_4)
	v_and_b32_e32 v23, 7, v6
	s_wait_alu 0xfffd
	v_add_co_ci_u32_e32 v28, vcc_lo, s3, v15, vcc_lo
	v_lshrrev_b32_e32 v26, v16, v20
	v_lshrrev_b32_e32 v6, 2, v6
	v_cmp_lt_i32_e32 vcc_lo, 5, v23
	v_cmp_eq_u32_e64 s0, 3, v23
	s_mul_u64 s[2:3], s[4:5], 0x154
	v_lshlrev_b32_e32 v14, v16, v26
	v_add_nc_u32_e32 v16, 0xfffffc10, v25
	s_delay_alu instid0(VALU_DEP_3) | instskip(NEXT) | instid1(VALU_DEP_2)
	s_or_b32 vcc_lo, s0, vcc_lo
	v_cmp_ne_u32_e64 s1, v14, v20
	s_wait_alu 0xfffe
	v_add_co_ci_u32_e32 v6, vcc_lo, 0, v6, vcc_lo
	v_lshrrev_b32_e32 v20, 16, v17
	v_cmp_ne_u32_e32 vcc_lo, 0, v24
	s_wait_alu 0xf1ff
	v_cndmask_b32_e64 v14, 0, 1, s1
	v_lshl_or_b32 v15, v16, 12, v12
	v_cmp_eq_u32_e64 s1, 0x40f, v22
	v_mul_f16_e32 v24, v30, v20
	s_wait_alu 0xfffd
	v_cndmask_b32_e64 v23, 0, 1, vcc_lo
	v_or_b32_e32 v14, v26, v14
	v_cmp_gt_i32_e32 vcc_lo, 1, v16
	v_mul_f64_e32 v[10:11], s[8:9], v[10:11]
	v_fmac_f16_e32 v24, v73, v17
	v_lshrrev_b32_e32 v26, 8, v19
	v_bfe_u32 v29, v19, 20, 11
	s_wait_alu 0xfffd
	v_cndmask_b32_e32 v25, v15, v14, vcc_lo
	v_and_or_b32 v14, 0x1ff, v19, v18
	v_cmp_gt_i32_e32 vcc_lo, 31, v22
	v_cvt_f32_f16_e32 v15, v24
	v_lshl_or_b32 v18, v23, 9, 0x7c00
	v_and_b32_e32 v23, 7, v25
	v_mul_f16_e32 v17, v30, v17
	s_wait_alu 0xfffd
	v_cndmask_b32_e32 v6, 0x7c00, v6, vcc_lo
	v_cmp_ne_u32_e32 vcc_lo, 0, v14
	v_cvt_f64_f32_e32 v[14:15], v15
	v_cmp_eq_u32_e64 s0, 3, v23
	v_lshrrev_b32_e32 v19, 16, v19
	s_wait_alu 0xf1ff
	v_cndmask_b32_e64 v6, v6, v18, s1
	s_wait_alu 0xfffd
	v_cndmask_b32_e64 v24, 0, 1, vcc_lo
	v_cmp_lt_i32_e32 vcc_lo, 5, v23
	v_lshrrev_b32_e32 v18, 2, v25
	v_lshrrev_b32_e32 v30, 16, v69
	s_delay_alu instid0(VALU_DEP_4)
	v_and_or_b32 v23, 0xffe, v26, v24
	v_sub_nc_u32_e32 v24, 0x3f1, v29
	s_or_b32 vcc_lo, s0, vcc_lo
	v_and_or_b32 v26, 0x8000, v7, v6
	s_wait_alu 0xfffe
	v_add_co_ci_u32_e32 v18, vcc_lo, 0, v18, vcc_lo
	v_or_b32_e32 v22, 0x1000, v23
	v_med3_i32 v24, v24, 0, 13
	v_cmp_ne_u32_e32 vcc_lo, 0, v12
	v_fma_f16 v7, v73, v20, -v17
	s_delay_alu instid0(VALU_DEP_3)
	v_lshrrev_b32_e32 v25, v24, v22
	s_wait_alu 0xfffd
	v_cndmask_b32_e64 v12, 0, 1, vcc_lo
	v_cmp_gt_i32_e32 vcc_lo, 31, v16
	v_and_or_b32 v10, 0x1ff, v11, v10
	v_lshlrev_b32_e32 v6, v24, v25
	s_delay_alu instid0(VALU_DEP_4)
	v_lshl_or_b32 v12, v12, 9, 0x7c00
	s_wait_alu 0xfffd
	v_cndmask_b32_e32 v18, 0x7c00, v18, vcc_lo
	v_cmp_eq_u32_e32 vcc_lo, 0x40f, v16
	v_lshrrev_b32_e32 v17, 8, v11
	v_bfe_u32 v20, v11, 20, 11
	v_lshrrev_b32_e32 v24, 16, v13
	s_wait_alu 0xfffd
	v_cndmask_b32_e32 v16, v18, v12, vcc_lo
	v_cmp_ne_u32_e32 vcc_lo, v6, v22
	v_cvt_f32_f16_e32 v6, v7
	v_add_nc_u32_e32 v18, 0xfffffc10, v29
	v_mul_f64_e32 v[14:15], s[8:9], v[14:15]
	s_wait_alu 0xfffd
	v_cndmask_b32_e64 v12, 0, 1, vcc_lo
	v_cmp_ne_u32_e32 vcc_lo, 0, v10
	v_cvt_f64_f32_e32 v[6:7], v6
	v_lshl_or_b32 v22, v18, 12, v23
	s_delay_alu instid0(VALU_DEP_4) | instskip(SKIP_3) | instid1(VALU_DEP_2)
	v_or_b32_e32 v12, v25, v12
	s_wait_alu 0xfffd
	v_cndmask_b32_e64 v10, 0, 1, vcc_lo
	v_cmp_gt_i32_e32 vcc_lo, 1, v18
	v_and_or_b32 v10, 0xffe, v17, v10
	v_sub_nc_u32_e32 v17, 0x3f1, v20
	s_wait_alu 0xfffd
	v_cndmask_b32_e32 v22, v22, v12, vcc_lo
	ds_load_2addr_b32 v[12:13], v5 offset0:84 offset1:169
	v_and_or_b32 v5, 0x8000, v24, v16
	v_or_b32_e32 v25, 0x1000, v10
	v_med3_i32 v17, v17, 0, 13
	v_add_co_u32 v8, vcc_lo, v27, v8
	v_and_b32_e32 v24, 0xffff, v26
	v_and_b32_e32 v26, 7, v22
	s_delay_alu instid0(VALU_DEP_4)
	v_lshrrev_b32_e32 v16, v17, v25
	s_wait_alu 0xfffd
	v_add_co_ci_u32_e32 v9, vcc_lo, v28, v9, vcc_lo
	v_add_nc_u32_e32 v20, 0xfffffc10, v20
	v_cmp_lt_i32_e32 vcc_lo, 5, v26
	v_lshlrev_b32_e32 v17, v17, v16
	v_cmp_eq_u32_e64 s0, 3, v26
	global_store_b32 v[8:9], v21, off
	v_lshl_or_b32 v21, v5, 16, v24
	v_lshrrev_b32_e32 v5, 2, v22
	v_cmp_ne_u32_e64 s1, v17, v25
	s_or_b32 vcc_lo, s0, vcc_lo
	s_wait_dscnt 0x0
	v_lshrrev_b32_e32 v24, 16, v12
	v_lshrrev_b32_e32 v28, 16, v71
	s_wait_alu 0xfffe
	v_add_co_ci_u32_e32 v22, vcc_lo, 0, v5, vcc_lo
	v_cndmask_b32_e64 v17, 0, 1, s1
	v_cmp_ne_u32_e32 vcc_lo, 0, v23
	v_mul_f64_e32 v[5:6], s[8:9], v[6:7]
	v_mul_f16_e32 v7, v28, v24
	v_and_or_b32 v14, 0x1ff, v15, v14
	v_or_b32_e32 v16, v16, v17
	v_lshl_or_b32 v17, v20, 12, v10
	s_wait_alu 0xfffd
	v_cndmask_b32_e64 v23, 0, 1, vcc_lo
	v_cmp_gt_i32_e32 vcc_lo, 1, v20
	v_fmac_f16_e32 v7, v71, v12
	v_cmp_eq_u32_e64 s1, 0x40f, v18
	v_lshrrev_b32_e32 v26, 8, v15
	v_lshl_or_b32 v23, v23, 9, 0x7c00
	s_wait_alu 0xfffd
	v_cndmask_b32_e32 v25, v17, v16, vcc_lo
	v_cmp_gt_i32_e32 vcc_lo, 31, v18
	v_cvt_f32_f16_e32 v7, v7
	v_bfe_u32 v27, v15, 20, 11
	v_lshrrev_b32_e32 v15, 16, v15
	v_and_b32_e32 v16, 7, v25
	s_wait_alu 0xfffd
	v_cndmask_b32_e32 v22, 0x7c00, v22, vcc_lo
	v_cmp_ne_u32_e32 vcc_lo, 0, v14
	s_delay_alu instid0(VALU_DEP_3) | instskip(SKIP_1) | instid1(VALU_DEP_3)
	v_cmp_eq_u32_e64 s0, 3, v16
	s_wait_alu 0xf1ff
	v_cndmask_b32_e64 v18, v22, v23, s1
	s_wait_alu 0xfffd
	v_cndmask_b32_e64 v14, 0, 1, vcc_lo
	v_cmp_lt_i32_e32 vcc_lo, 5, v16
	v_lshrrev_b32_e32 v22, 2, v25
	v_cvt_f64_f32_e32 v[16:17], v7
	v_sub_nc_u32_e32 v7, 0x3f1, v27
	v_and_or_b32 v14, 0xffe, v26, v14
	s_or_b32 vcc_lo, s0, vcc_lo
	v_and_or_b32 v18, 0x8000, v19, v18
	s_wait_alu 0xfffe
	v_add_co_ci_u32_e32 v22, vcc_lo, 0, v22, vcc_lo
	v_or_b32_e32 v23, 0x1000, v14
	v_med3_i32 v7, v7, 0, 13
	v_cmp_ne_u32_e32 vcc_lo, 0, v10
	v_and_b32_e32 v18, 0xffff, v18
	v_and_or_b32 v5, 0x1ff, v6, v5
	s_delay_alu instid0(VALU_DEP_4) | instskip(SKIP_3) | instid1(VALU_DEP_3)
	v_lshrrev_b32_e32 v25, v7, v23
	s_wait_alu 0xfffd
	v_cndmask_b32_e64 v10, 0, 1, vcc_lo
	v_cmp_gt_i32_e32 vcc_lo, 31, v20
	v_lshlrev_b32_e32 v7, v7, v25
	s_delay_alu instid0(VALU_DEP_3)
	v_lshl_or_b32 v10, v10, 9, 0x7c00
	s_wait_alu 0xfffd
	v_cndmask_b32_e32 v22, 0x7c00, v22, vcc_lo
	v_cmp_eq_u32_e32 vcc_lo, 0x40f, v20
	v_lshrrev_b32_e32 v20, 16, v11
	v_lshrrev_b32_e32 v11, 8, v6
	s_wait_alu 0xfffd
	v_cndmask_b32_e32 v19, v22, v10, vcc_lo
	v_cmp_ne_u32_e32 vcc_lo, v7, v23
	v_mul_f16_e32 v10, v28, v12
	v_bfe_u32 v12, v6, 20, 11
	v_add_nc_u32_e32 v22, 0xfffffc10, v27
	v_and_or_b32 v19, 0x8000, v20, v19
	s_wait_alu 0xfffd
	v_cndmask_b32_e64 v7, 0, 1, vcc_lo
	v_cmp_ne_u32_e32 vcc_lo, 0, v5
	v_fma_f16 v10, v71, v24, -v10
	v_sub_nc_u32_e32 v24, 0x3f1, v12
	v_lshl_or_b32 v26, v19, 16, v18
	v_or_b32_e32 v7, v25, v7
	s_wait_alu 0xfffd
	v_cndmask_b32_e64 v5, 0, 1, vcc_lo
	v_cvt_f32_f16_e32 v23, v10
	v_lshl_or_b32 v25, v22, 12, v14
	v_med3_i32 v24, v24, 0, 13
	v_cmp_gt_i32_e32 vcc_lo, 1, v22
	v_and_or_b32 v5, 0xffe, v11, v5
	v_mul_f64_e32 v[10:11], s[8:9], v[16:17]
	v_cvt_f64_f32_e32 v[16:17], v23
	s_wait_alu 0xfffd
	v_cndmask_b32_e32 v20, v25, v7, vcc_lo
	v_or_b32_e32 v23, 0x1000, v5
	v_add_co_u32 v7, vcc_lo, v8, s2
	s_wait_alu 0xfffd
	v_add_co_ci_u32_e32 v8, vcc_lo, s3, v9, vcc_lo
	s_delay_alu instid0(VALU_DEP_3) | instskip(NEXT) | instid1(VALU_DEP_3)
	v_lshrrev_b32_e32 v25, v24, v23
	v_add_co_u32 v18, vcc_lo, v7, s2
	s_wait_alu 0xfffd
	s_delay_alu instid0(VALU_DEP_3) | instskip(NEXT) | instid1(VALU_DEP_3)
	v_add_co_ci_u32_e32 v19, vcc_lo, s3, v8, vcc_lo
	v_lshlrev_b32_e32 v24, v24, v25
	s_delay_alu instid0(VALU_DEP_1) | instskip(SKIP_3) | instid1(VALU_DEP_2)
	v_cmp_ne_u32_e64 s1, v24, v23
	v_add_nc_u32_e32 v23, 0xfffffc10, v12
	v_and_b32_e32 v9, 7, v20
	v_lshrrev_b32_e32 v12, 16, v13
	v_cmp_lt_i32_e32 vcc_lo, 5, v9
	v_cmp_eq_u32_e64 s0, 3, v9
	v_lshrrev_b32_e32 v9, 2, v20
	s_wait_alu 0xf1ff
	v_cndmask_b32_e64 v20, 0, 1, s1
	s_delay_alu instid0(VALU_DEP_3)
	s_or_b32 vcc_lo, s0, vcc_lo
	s_wait_alu 0xfffe
	v_add_co_ci_u32_e32 v24, vcc_lo, 0, v9, vcc_lo
	v_cmp_ne_u32_e32 vcc_lo, 0, v14
	v_or_b32_e32 v9, v25, v20
	v_mul_f16_e32 v25, v30, v12
	v_lshl_or_b32 v20, v23, 12, v5
	v_and_or_b32 v27, 0x1ff, v11, v10
	s_wait_alu 0xfffd
	v_cndmask_b32_e64 v14, 0, 1, vcc_lo
	v_cmp_gt_i32_e32 vcc_lo, 1, v23
	v_fmac_f16_e32 v25, v69, v13
	v_lshrrev_b32_e32 v28, 8, v11
	v_bfe_u32 v29, v11, 20, 11
	v_lshl_or_b32 v14, v14, 9, 0x7c00
	s_wait_alu 0xfffd
	v_cndmask_b32_e32 v20, v20, v9, vcc_lo
	v_cmp_gt_i32_e32 vcc_lo, 31, v22
	v_mul_f64_e32 v[9:10], s[8:9], v[16:17]
	v_cvt_f32_f16_e32 v16, v25
	v_mul_f16_e32 v13, v30, v13
	s_wait_alu 0xfffd
	v_cndmask_b32_e32 v24, 0x7c00, v24, vcc_lo
	v_cmp_ne_u32_e32 vcc_lo, 0, v27
	v_cvt_f64_f32_e32 v[16:17], v16
	v_fma_f16 v12, v69, v12, -v13
	s_wait_alu 0xfffd
	v_cndmask_b32_e64 v27, 0, 1, vcc_lo
	v_cmp_eq_u32_e32 vcc_lo, 0x40f, v22
	v_and_b32_e32 v25, 7, v20
	v_lshrrev_b32_e32 v20, 2, v20
	v_cvt_f32_f16_e32 v12, v12
	v_and_or_b32 v22, 0xffe, v28, v27
	s_wait_alu 0xfffd
	v_cndmask_b32_e32 v14, v24, v14, vcc_lo
	v_cmp_lt_i32_e32 vcc_lo, 5, v25
	v_cmp_eq_u32_e64 s0, 3, v25
	v_sub_nc_u32_e32 v24, 0x3f1, v29
	v_or_b32_e32 v25, 0x1000, v22
	v_and_or_b32 v28, 0x8000, v15, v14
	s_delay_alu instid0(VALU_DEP_4) | instskip(NEXT) | instid1(VALU_DEP_3)
	s_or_b32 vcc_lo, s0, vcc_lo
	v_med3_i32 v24, v24, 0, 13
	s_wait_alu 0xfffe
	v_add_co_ci_u32_e32 v13, vcc_lo, 0, v20, vcc_lo
	v_cmp_ne_u32_e32 vcc_lo, 0, v5
	s_delay_alu instid0(VALU_DEP_3) | instskip(SKIP_3) | instid1(VALU_DEP_3)
	v_lshrrev_b32_e32 v20, v24, v25
	s_wait_alu 0xfffd
	v_cndmask_b32_e64 v5, 0, 1, vcc_lo
	v_cmp_gt_i32_e32 vcc_lo, 31, v23
	v_lshlrev_b32_e32 v14, v24, v20
	s_delay_alu instid0(VALU_DEP_3)
	v_lshl_or_b32 v5, v5, 9, 0x7c00
	s_wait_alu 0xfffd
	v_cndmask_b32_e32 v27, 0x7c00, v13, vcc_lo
	v_cvt_f64_f32_e32 v[12:13], v12
	v_cmp_eq_u32_e32 vcc_lo, 0x40f, v23
	v_bfe_u32 v30, v10, 20, 11
	s_wait_alu 0xfffd
	v_cndmask_b32_e32 v23, v27, v5, vcc_lo
	v_and_or_b32 v5, 0x1ff, v10, v9
	v_cmp_ne_u32_e32 vcc_lo, v14, v25
	v_lshrrev_b32_e32 v9, 16, v6
	v_add_nc_u32_e32 v25, 0xfffffc10, v29
	v_lshrrev_b32_e32 v29, 8, v10
	ds_load_2addr_b32 v[14:15], v4 offset0:126 offset1:211
	s_wait_alu 0xfffd
	v_cndmask_b32_e64 v24, 0, 1, vcc_lo
	v_cmp_ne_u32_e32 vcc_lo, 0, v5
	v_mul_f64_e32 v[5:6], s[8:9], v[16:17]
	v_and_or_b32 v4, 0x8000, v9, v23
	v_lshl_or_b32 v16, v25, 12, v22
	v_or_b32_e32 v9, v20, v24
	s_wait_alu 0xfffd
	v_cndmask_b32_e64 v27, 0, 1, vcc_lo
	v_sub_nc_u32_e32 v20, 0x3f1, v30
	v_cmp_gt_i32_e32 vcc_lo, 1, v25
	v_and_b32_e32 v23, 0xffff, v28
	s_clause 0x1
	global_store_b32 v[7:8], v21, off
	global_store_b32 v[18:19], v26, off
	v_and_or_b32 v17, 0xffe, v29, v27
	v_med3_i32 v20, v20, 0, 13
	s_wait_alu 0xfffd
	v_cndmask_b32_e32 v9, v16, v9, vcc_lo
	v_lshl_or_b32 v21, v4, 16, v23
	v_add_co_u32 v7, vcc_lo, v18, s2
	v_or_b32_e32 v16, 0x1000, v17
	s_delay_alu instid0(VALU_DEP_4)
	v_and_b32_e32 v4, 7, v9
	s_wait_alu 0xfffd
	v_add_co_ci_u32_e32 v8, vcc_lo, s3, v19, vcc_lo
	v_lshrrev_b32_e32 v9, 2, v9
	v_lshrrev_b32_e32 v23, v20, v16
	v_cmp_lt_i32_e32 vcc_lo, 5, v4
	v_cmp_eq_u32_e64 s0, 3, v4
	v_mul_f64_e32 v[12:13], s[8:9], v[12:13]
	s_wait_dscnt 0x0
	v_lshrrev_b32_e32 v18, 16, v14
	v_lshlrev_b32_e32 v19, v20, v23
	v_lshrrev_b32_e32 v27, 16, v67
	s_or_b32 vcc_lo, s0, vcc_lo
	v_lshrrev_b32_e32 v10, 16, v10
	s_wait_alu 0xfffe
	v_add_co_ci_u32_e32 v9, vcc_lo, 0, v9, vcc_lo
	v_cmp_ne_u32_e64 s1, v19, v16
	v_add_nc_u32_e32 v19, 0xfffffc10, v30
	v_cmp_ne_u32_e32 vcc_lo, 0, v22
	v_mul_f16_e32 v4, v27, v18
	global_store_b32 v[7:8], v21, off
	s_wait_alu 0xf1ff
	v_cndmask_b32_e64 v16, 0, 1, s1
	v_lshl_or_b32 v20, v19, 12, v17
	s_wait_alu 0xfffd
	v_cndmask_b32_e64 v22, 0, 1, vcc_lo
	v_cmp_gt_i32_e32 vcc_lo, 1, v19
	v_bfe_u32 v24, v6, 20, 11
	v_or_b32_e32 v16, v23, v16
	v_and_or_b32 v23, 0x1ff, v6, v5
	v_fmac_f16_e32 v4, v67, v14
	v_lshl_or_b32 v22, v22, 9, 0x7c00
	v_mul_f16_e32 v14, v27, v14
	s_wait_alu 0xfffd
	v_cndmask_b32_e32 v16, v20, v16, vcc_lo
	v_cmp_ne_u32_e32 vcc_lo, 0, v23
	v_lshrrev_b32_e32 v23, 8, v6
	v_cvt_f32_f16_e32 v4, v4
	v_fma_f16 v14, v67, v18, -v14
	v_and_b32_e32 v26, 7, v16
	s_wait_alu 0xfffd
	v_cndmask_b32_e64 v20, 0, 1, vcc_lo
	v_cmp_gt_i32_e32 vcc_lo, 31, v25
	v_cvt_f64_f32_e32 v[4:5], v4
	v_lshrrev_b32_e32 v6, 16, v6
	v_cmp_eq_u32_e64 s0, 3, v26
	v_and_or_b32 v20, 0xffe, v23, v20
	s_wait_alu 0xfffd
	v_cndmask_b32_e32 v9, 0x7c00, v9, vcc_lo
	v_sub_nc_u32_e32 v23, 0x3f1, v24
	v_cmp_eq_u32_e32 vcc_lo, 0x40f, v25
	v_lshrrev_b32_e32 v25, 16, v11
	v_lshrrev_b32_e32 v11, 2, v16
	v_and_or_b32 v12, 0x1ff, v13, v12
	v_med3_i32 v23, v23, 0, 13
	s_wait_alu 0xfffd
	v_cndmask_b32_e32 v9, v9, v22, vcc_lo
	v_or_b32_e32 v22, 0x1000, v20
	v_cmp_lt_i32_e32 vcc_lo, 5, v26
	v_lshrrev_b32_e32 v18, 8, v13
	s_delay_alu instid0(VALU_DEP_4) | instskip(NEXT) | instid1(VALU_DEP_4)
	v_and_or_b32 v9, 0x8000, v25, v9
	v_lshrrev_b32_e32 v16, v23, v22
	s_or_b32 vcc_lo, s0, vcc_lo
	s_wait_alu 0xfffe
	v_add_co_ci_u32_e32 v26, vcc_lo, 0, v11, vcc_lo
	s_delay_alu instid0(VALU_DEP_2)
	v_lshlrev_b32_e32 v11, v23, v16
	v_cmp_ne_u32_e32 vcc_lo, 0, v12
	v_bfe_u32 v23, v13, 20, 11
	v_lshrrev_b32_e32 v13, 16, v13
	s_wait_alu 0xfffd
	v_cndmask_b32_e64 v12, 0, 1, vcc_lo
	v_cmp_ne_u32_e32 vcc_lo, v11, v22
	v_cvt_f32_f16_e32 v11, v14
	v_add_nc_u32_e32 v14, 0xfffffc10, v24
	v_sub_nc_u32_e32 v24, 0x3f1, v23
	v_and_or_b32 v18, 0xffe, v18, v12
	s_wait_alu 0xfffd
	v_cndmask_b32_e64 v22, 0, 1, vcc_lo
	v_cmp_ne_u32_e32 vcc_lo, 0, v17
	v_cvt_f64_f32_e32 v[11:12], v11
	v_med3_i32 v24, v24, 0, 13
	v_or_b32_e32 v27, 0x1000, v18
	v_or_b32_e32 v16, v16, v22
	s_wait_alu 0xfffd
	v_cndmask_b32_e64 v17, 0, 1, vcc_lo
	v_cmp_gt_i32_e32 vcc_lo, 31, v19
	v_lshl_or_b32 v22, v14, 12, v20
	v_mul_f64_e32 v[4:5], s[8:9], v[4:5]
	v_add_nc_u32_e32 v21, 0xfffffc10, v23
	v_lshl_or_b32 v17, v17, 9, 0x7c00
	s_wait_alu 0xfffd
	v_cndmask_b32_e32 v26, 0x7c00, v26, vcc_lo
	v_cmp_gt_i32_e32 vcc_lo, 1, v14
	v_lshrrev_b32_e32 v23, 16, v15
	s_wait_alu 0xfffd
	v_cndmask_b32_e32 v16, v22, v16, vcc_lo
	v_lshrrev_b32_e32 v22, v24, v27
	v_cmp_eq_u32_e32 vcc_lo, 0x40f, v19
	s_wait_alu 0xfffd
	s_delay_alu instid0(VALU_DEP_2) | instskip(SKIP_1) | instid1(VALU_DEP_2)
	v_dual_cndmask_b32 v17, v26, v17 :: v_dual_lshlrev_b32 v24, v24, v22
	v_lshrrev_b32_e32 v26, 16, v65
	v_cmp_ne_u32_e64 s0, v24, v27
	s_delay_alu instid0(VALU_DEP_3) | instskip(SKIP_2) | instid1(VALU_DEP_3)
	v_and_or_b32 v17, 0x8000, v10, v17
	v_lshrrev_b32_e32 v27, 16, v58
	s_wait_alu 0xf1ff
	v_cndmask_b32_e64 v10, 0, 1, s0
	s_delay_alu instid0(VALU_DEP_1) | instskip(SKIP_1) | instid1(VALU_DEP_1)
	v_or_b32_e32 v10, v22, v10
	v_and_b32_e32 v19, 7, v16
	v_cmp_lt_i32_e32 vcc_lo, 5, v19
	v_cmp_eq_u32_e64 s0, 3, v19
	v_and_b32_e32 v19, 0xffff, v9
	v_lshrrev_b32_e32 v9, 2, v16
	v_lshl_or_b32 v16, v21, 12, v18
	v_and_or_b32 v4, 0x1ff, v5, v4
	s_or_b32 vcc_lo, s0, vcc_lo
	v_lshrrev_b32_e32 v24, 8, v5
	s_wait_alu 0xfffe
	v_add_co_ci_u32_e32 v22, vcc_lo, 0, v9, vcc_lo
	v_cmp_ne_u32_e32 vcc_lo, 0, v20
	v_bfe_u32 v25, v5, 20, 11
	v_lshrrev_b32_e32 v5, 16, v5
	s_wait_alu 0xfffd
	v_cndmask_b32_e64 v20, 0, 1, vcc_lo
	v_cmp_gt_i32_e32 vcc_lo, 1, v21
	s_wait_alu 0xfffd
	v_cndmask_b32_e32 v16, v16, v10, vcc_lo
	v_cmp_gt_i32_e32 vcc_lo, 31, v14
	v_mul_f64_e32 v[9:10], s[8:9], v[11:12]
	v_lshl_or_b32 v12, v20, 9, 0x7c00
	s_wait_alu 0xfffd
	v_dual_cndmask_b32 v11, 0x7c00, v22 :: v_dual_and_b32 v20, 7, v16
	v_cmp_ne_u32_e32 vcc_lo, 0, v4
	v_mul_f16_e32 v22, v26, v23
	v_lshrrev_b32_e32 v16, 2, v16
	s_delay_alu instid0(VALU_DEP_4) | instskip(SKIP_4) | instid1(VALU_DEP_3)
	v_cmp_eq_u32_e64 s0, 3, v20
	s_wait_alu 0xfffd
	v_cndmask_b32_e64 v4, 0, 1, vcc_lo
	v_cmp_eq_u32_e32 vcc_lo, 0x40f, v14
	v_fmac_f16_e32 v22, v65, v15
	v_and_or_b32 v24, 0xffe, v24, v4
	s_wait_alu 0xfffd
	v_cndmask_b32_e32 v14, v11, v12, vcc_lo
	v_cmp_lt_i32_e32 vcc_lo, 5, v20
	v_cvt_f32_f16_e32 v4, v22
	v_sub_nc_u32_e32 v22, 0x3f1, v25
	v_or_b32_e32 v20, 0x1000, v24
	s_or_b32 vcc_lo, s0, vcc_lo
	s_delay_alu instid0(VALU_DEP_3) | instskip(SKIP_4) | instid1(VALU_DEP_2)
	v_cvt_f64_f32_e32 v[11:12], v4
	s_wait_alu 0xfffe
	v_add_co_ci_u32_e32 v16, vcc_lo, 0, v16, vcc_lo
	v_med3_i32 v4, v22, 0, 13
	v_cmp_ne_u32_e32 vcc_lo, 0, v18
	v_lshrrev_b32_e32 v22, v4, v20
	s_wait_alu 0xfffd
	v_cndmask_b32_e64 v18, 0, 1, vcc_lo
	v_cmp_gt_i32_e32 vcc_lo, 31, v21
	s_delay_alu instid0(VALU_DEP_3) | instskip(NEXT) | instid1(VALU_DEP_3)
	v_lshlrev_b32_e32 v4, v4, v22
	v_lshl_or_b32 v18, v18, 9, 0x7c00
	s_wait_alu 0xfffd
	v_cndmask_b32_e32 v16, 0x7c00, v16, vcc_lo
	v_cmp_eq_u32_e32 vcc_lo, 0x40f, v21
	s_wait_alu 0xfffd
	s_delay_alu instid0(VALU_DEP_2)
	v_cndmask_b32_e32 v16, v16, v18, vcc_lo
	v_cmp_ne_u32_e32 vcc_lo, v4, v20
	v_lshl_or_b32 v17, v17, 16, v19
	v_and_or_b32 v19, 0x8000, v6, v14
	v_and_or_b32 v6, 0x1ff, v10, v9
	v_mul_f16_e32 v14, v26, v15
	s_wait_alu 0xfffd
	v_cndmask_b32_e64 v4, 0, 1, vcc_lo
	v_lshrrev_b32_e32 v15, 8, v10
	v_bfe_u32 v18, v10, 20, 11
	v_cmp_ne_u32_e32 vcc_lo, 0, v6
	v_fma_f16 v14, v65, v23, -v14
	v_or_b32_e32 v4, v22, v4
	v_add_nc_u32_e32 v9, 0xfffffc10, v25
	s_wait_alu 0xfffd
	v_cndmask_b32_e64 v6, 0, 1, vcc_lo
	v_cvt_f32_f16_e32 v14, v14
	s_delay_alu instid0(VALU_DEP_3) | instskip(SKIP_1) | instid1(VALU_DEP_4)
	v_lshl_or_b32 v20, v9, 12, v24
	v_cmp_gt_i32_e32 vcc_lo, 1, v9
	v_and_or_b32 v21, 0xffe, v15, v6
	v_sub_nc_u32_e32 v6, 0x3f1, v18
	v_cvt_f64_f32_e32 v[14:15], v14
	v_mul_f64_e32 v[11:12], s[8:9], v[11:12]
	s_wait_alu 0xfffd
	v_cndmask_b32_e32 v20, v20, v4, vcc_lo
	v_or_b32_e32 v22, 0x1000, v21
	v_med3_i32 v23, v6, 0, 13
	v_add_co_u32 v6, vcc_lo, v7, s2
	s_delay_alu instid0(VALU_DEP_4)
	v_and_b32_e32 v25, 7, v20
	s_wait_alu 0xfffd
	v_add_co_ci_u32_e32 v7, vcc_lo, s3, v8, vcc_lo
	v_lshrrev_b32_e32 v26, v23, v22
	ds_load_2addr_b32 v[3:4], v3 offset0:168 offset1:253
	v_cmp_lt_i32_e32 vcc_lo, 5, v25
	v_cmp_eq_u32_e64 s0, 3, v25
	v_and_or_b32 v8, 0x8000, v13, v16
	v_and_b32_e32 v16, 0xffff, v19
	v_lshrrev_b32_e32 v19, 2, v20
	v_lshlrev_b32_e32 v13, v23, v26
	s_or_b32 vcc_lo, s0, vcc_lo
	v_add_nc_u32_e32 v18, 0xfffffc10, v18
	s_wait_alu 0xfffe
	v_add_co_ci_u32_e32 v19, vcc_lo, 0, v19, vcc_lo
	v_cmp_ne_u32_e64 s1, v13, v22
	v_cmp_ne_u32_e32 vcc_lo, 0, v24
	v_lshl_or_b32 v22, v18, 12, v21
	s_wait_alu 0xf1ff
	s_delay_alu instid0(VALU_DEP_3)
	v_cndmask_b32_e64 v13, 0, 1, s1
	s_wait_alu 0xfffd
	v_cndmask_b32_e64 v20, 0, 1, vcc_lo
	v_cmp_gt_i32_e32 vcc_lo, 31, v9
	s_wait_dscnt 0x0
	v_lshrrev_b32_e32 v23, 16, v3
	v_or_b32_e32 v13, v26, v13
	v_lshrrev_b32_e32 v26, 16, v63
	s_wait_alu 0xfffd
	v_cndmask_b32_e32 v19, 0x7c00, v19, vcc_lo
	v_cmp_gt_i32_e32 vcc_lo, 1, v18
	v_lshl_or_b32 v20, v20, 9, 0x7c00
	v_and_or_b32 v11, 0x1ff, v12, v11
	s_wait_alu 0xfffd
	v_cndmask_b32_e32 v13, v22, v13, vcc_lo
	v_cmp_eq_u32_e32 vcc_lo, 0x40f, v9
	v_lshl_or_b32 v22, v8, 16, v16
	v_mul_f16_e32 v16, v26, v23
	v_mul_f64_e32 v[8:9], s[8:9], v[14:15]
	v_lshrrev_b32_e32 v15, 2, v13
	s_wait_alu 0xfffd
	v_dual_cndmask_b32 v19, v19, v20 :: v_dual_and_b32 v20, 7, v13
	v_fmac_f16_e32 v16, v63, v3
	v_cmp_ne_u32_e64 s1, 0, v11
	v_mul_f16_e32 v3, v26, v3
	s_delay_alu instid0(VALU_DEP_4)
	v_and_or_b32 v5, 0x8000, v5, v19
	v_cmp_lt_i32_e32 vcc_lo, 5, v20
	v_cmp_eq_u32_e64 s0, 3, v20
	v_cvt_f32_f16_e32 v13, v16
	s_wait_alu 0xf1ff
	v_cndmask_b32_e64 v11, 0, 1, s1
	v_lshrrev_b32_e32 v16, 8, v12
	v_bfe_u32 v20, v12, 20, 11
	s_or_b32 vcc_lo, s0, vcc_lo
	v_cvt_f64_f32_e32 v[13:14], v13
	s_wait_alu 0xfffe
	v_add_co_ci_u32_e32 v15, vcc_lo, 0, v15, vcc_lo
	v_cmp_ne_u32_e32 vcc_lo, 0, v21
	v_and_or_b32 v24, 0xffe, v16, v11
	v_sub_nc_u32_e32 v11, 0x3f1, v20
	v_fma_f16 v3, v63, v23, -v3
	v_add_nc_u32_e32 v20, 0xfffffc10, v20
	s_wait_alu 0xfffd
	v_cndmask_b32_e64 v21, 0, 1, vcc_lo
	v_cmp_gt_i32_e32 vcc_lo, 31, v18
	v_med3_i32 v25, v11, 0, 13
	v_cvt_f32_f16_e32 v3, v3
	v_and_b32_e32 v5, 0xffff, v5
	v_lshl_or_b32 v16, v21, 9, 0x7c00
	v_or_b32_e32 v21, 0x1000, v24
	s_wait_alu 0xfffd
	v_cndmask_b32_e32 v15, 0x7c00, v15, vcc_lo
	v_cmp_eq_u32_e32 vcc_lo, 0x40f, v18
	s_delay_alu instid0(VALU_DEP_3) | instskip(SKIP_1) | instid1(VALU_DEP_3)
	v_lshrrev_b32_e32 v18, v25, v21
	s_wait_alu 0xfffd
	v_cndmask_b32_e32 v15, v15, v16, vcc_lo
	v_lshrrev_b32_e32 v16, 16, v10
	v_add_co_u32 v10, vcc_lo, v6, s2
	v_lshlrev_b32_e32 v23, v25, v18
	s_wait_alu 0xfffd
	v_add_co_ci_u32_e32 v11, vcc_lo, s3, v7, vcc_lo
	v_and_or_b32 v8, 0x1ff, v9, v8
	v_and_or_b32 v19, 0x8000, v16, v15
	v_cmp_ne_u32_e32 vcc_lo, v23, v21
	v_cvt_f64_f32_e32 v[15:16], v3
	v_bfe_u32 v23, v9, 20, 11
	global_store_b32 v[6:7], v17, off
	global_store_b32 v[10:11], v22, off
	v_lshl_or_b32 v17, v19, 16, v5
	s_wait_alu 0xfffd
	v_cndmask_b32_e64 v21, 0, 1, vcc_lo
	v_cmp_ne_u32_e32 vcc_lo, 0, v8
	v_lshrrev_b32_e32 v8, 8, v9
	v_mul_f64_e32 v[13:14], s[8:9], v[13:14]
	v_lshrrev_b32_e32 v22, 16, v4
	v_or_b32_e32 v18, v18, v21
	s_wait_alu 0xfffd
	v_cndmask_b32_e64 v3, 0, 1, vcc_lo
	v_lshl_or_b32 v21, v20, 12, v24
	v_cmp_gt_i32_e32 vcc_lo, 1, v20
	v_lshrrev_b32_e32 v25, 16, v61
	v_lshrrev_b32_e32 v9, 16, v9
	v_and_or_b32 v3, 0xffe, v8, v3
	v_sub_nc_u32_e32 v8, 0x3f1, v23
	s_wait_alu 0xfffd
	v_cndmask_b32_e32 v18, v21, v18, vcc_lo
	v_add_co_u32 v5, vcc_lo, v10, s2
	v_or_b32_e32 v21, 0x1000, v3
	v_med3_i32 v8, v8, 0, 13
	s_delay_alu instid0(VALU_DEP_4)
	v_and_b32_e32 v7, 7, v18
	s_wait_alu 0xfffd
	v_add_co_ci_u32_e32 v6, vcc_lo, s3, v11, vcc_lo
	v_mul_f16_e32 v10, v25, v22
	v_lshrrev_b32_e32 v19, v8, v21
	v_cmp_lt_i32_e32 vcc_lo, 5, v7
	v_cmp_eq_u32_e64 s0, 3, v7
	v_lshrrev_b32_e32 v7, 2, v18
	v_add_nc_u32_e32 v18, 0xfffffc10, v23
	v_lshlrev_b32_e32 v8, v8, v19
	v_fmac_f16_e32 v10, v61, v4
	s_or_b32 vcc_lo, s0, vcc_lo
	v_mul_f16_e32 v4, v25, v4
	s_wait_alu 0xfffe
	v_add_co_ci_u32_e32 v11, vcc_lo, 0, v7, vcc_lo
	v_cmp_ne_u32_e64 s1, v8, v21
	v_cmp_gt_i32_e32 vcc_lo, 31, v20
	v_lshl_or_b32 v21, v18, 12, v3
	v_cvt_f32_f16_e32 v10, v10
	v_fma_f16 v4, v61, v22, -v4
	s_wait_alu 0xf1ff
	v_cndmask_b32_e64 v8, 0, 1, s1
	v_cmp_eq_u32_e64 s1, 0x40f, v20
	global_store_b32 v[5:6], v17, off
	v_and_or_b32 v13, 0x1ff, v14, v13
	v_lshrrev_b32_e32 v23, 8, v14
	v_or_b32_e32 v19, v19, v8
	v_mul_f64_e32 v[7:8], s[8:9], v[15:16]
	s_wait_alu 0xfffd
	v_cndmask_b32_e32 v15, 0x7c00, v11, vcc_lo
	v_cmp_gt_i32_e32 vcc_lo, 1, v18
	v_cvt_f64_f32_e32 v[10:11], v10
	v_cvt_f32_f16_e32 v4, v4
	s_wait_alu 0xfffd
	v_cndmask_b32_e32 v16, v21, v19, vcc_lo
	v_cmp_ne_u32_e32 vcc_lo, 0, v24
	v_bfe_u32 v24, v14, 20, 11
	v_lshrrev_b32_e32 v14, 16, v14
	s_delay_alu instid0(VALU_DEP_4)
	v_and_b32_e32 v21, 7, v16
	s_wait_alu 0xfffd
	v_cndmask_b32_e64 v19, 0, 1, vcc_lo
	v_cmp_ne_u32_e32 vcc_lo, 0, v13
	v_lshrrev_b32_e32 v16, 2, v16
	v_cmp_eq_u32_e64 s0, 3, v21
	s_delay_alu instid0(VALU_DEP_4)
	v_lshl_or_b32 v19, v19, 9, 0x7c00
	s_wait_alu 0xfffd
	v_cndmask_b32_e64 v13, 0, 1, vcc_lo
	v_cmp_lt_i32_e32 vcc_lo, 5, v21
	s_wait_alu 0xf1ff
	v_cndmask_b32_e64 v15, v15, v19, s1
	s_delay_alu instid0(VALU_DEP_3)
	v_and_or_b32 v21, 0xffe, v23, v13
	v_sub_nc_u32_e32 v13, 0x3f1, v24
	s_or_b32 vcc_lo, s0, vcc_lo
	v_lshrrev_b32_e32 v23, 16, v12
	s_wait_alu 0xfffe
	v_add_co_ci_u32_e32 v16, vcc_lo, 0, v16, vcc_lo
	v_or_b32_e32 v19, 0x1000, v21
	v_med3_i32 v13, v13, 0, 13
	v_cmp_gt_i32_e32 vcc_lo, 31, v18
	v_and_or_b32 v15, 0x8000, v23, v15
	s_delay_alu instid0(VALU_DEP_3)
	v_lshrrev_b32_e32 v20, v13, v19
	s_wait_alu 0xfffd
	v_cndmask_b32_e32 v16, 0x7c00, v16, vcc_lo
	v_cmp_ne_u32_e32 vcc_lo, 0, v3
	v_and_or_b32 v3, 0x1ff, v8, v7
	v_lshrrev_b32_e32 v22, 8, v8
	v_lshlrev_b32_e32 v12, v13, v20
	v_mul_f64_e32 v[10:11], s[8:9], v[10:11]
	s_wait_alu 0xfffd
	v_cndmask_b32_e64 v13, 0, 1, vcc_lo
	v_and_b32_e32 v15, 0xffff, v15
	v_cmp_ne_u32_e32 vcc_lo, v12, v19
	v_add_nc_u32_e32 v19, 0xfffffc10, v24
	v_bfe_u32 v24, v8, 20, 11
	v_lshl_or_b32 v25, v13, 9, 0x7c00
	s_wait_alu 0xfffd
	v_cndmask_b32_e64 v7, 0, 1, vcc_lo
	v_cmp_ne_u32_e32 vcc_lo, 0, v3
	v_cvt_f64_f32_e32 v[3:4], v4
	s_delay_alu instid0(VALU_DEP_3) | instskip(SKIP_4) | instid1(VALU_DEP_3)
	v_or_b32_e32 v7, v20, v7
	s_wait_alu 0xfffd
	v_cndmask_b32_e64 v12, 0, 1, vcc_lo
	v_lshl_or_b32 v20, v19, 12, v21
	v_cmp_gt_i32_e32 vcc_lo, 1, v19
	v_and_or_b32 v22, 0xffe, v22, v12
	v_sub_nc_u32_e32 v12, 0x3f1, v24
	s_wait_alu 0xfffd
	v_cndmask_b32_e32 v7, v20, v7, vcc_lo
	v_cmp_eq_u32_e32 vcc_lo, 0x40f, v18
	v_or_b32_e32 v20, 0x1000, v22
	v_med3_i32 v26, v12, 0, 13
	ds_load_2addr_b32 v[12:13], v2 offset0:82 offset1:167
	s_wait_alu 0xfffd
	v_cndmask_b32_e32 v2, v16, v25, vcc_lo
	v_and_b32_e32 v18, 7, v7
	v_lshrrev_b32_e32 v7, 2, v7
	v_lshrrev_b32_e32 v16, v26, v20
	s_delay_alu instid0(VALU_DEP_4) | instskip(NEXT) | instid1(VALU_DEP_4)
	v_and_or_b32 v17, 0x8000, v9, v2
	v_cmp_lt_i32_e32 vcc_lo, 5, v18
	v_cmp_eq_u32_e64 s0, 3, v18
	s_delay_alu instid0(VALU_DEP_4)
	v_lshlrev_b32_e32 v2, v26, v16
	v_add_nc_u32_e32 v18, 0xfffffc10, v24
	v_lshrrev_b32_e32 v26, 16, v59
	v_lshrrev_b32_e32 v24, 8, v11
	s_or_b32 vcc_lo, s0, vcc_lo
	v_cmp_ne_u32_e64 s1, v2, v20
	s_wait_alu 0xfffe
	v_add_co_ci_u32_e32 v7, vcc_lo, 0, v7, vcc_lo
	v_cmp_ne_u32_e32 vcc_lo, 0, v21
	v_lshl_or_b32 v20, v18, 12, v22
	s_wait_alu 0xf1ff
	v_cndmask_b32_e64 v2, 0, 1, s1
	v_bfe_u32 v25, v11, 20, 11
	v_cmp_eq_u32_e64 s1, 0x40f, v19
	s_wait_alu 0xfffd
	v_cndmask_b32_e64 v21, 0, 1, vcc_lo
	v_cmp_gt_i32_e32 vcc_lo, 1, v18
	v_or_b32_e32 v9, v16, v2
	s_wait_dscnt 0x0
	v_lshrrev_b32_e32 v16, 16, v12
	v_mul_f64_e32 v[2:3], s[8:9], v[3:4]
	v_lshl_or_b32 v21, v21, 9, 0x7c00
	v_lshl_or_b32 v17, v17, 16, v15
	s_wait_alu 0xfffd
	v_cndmask_b32_e32 v20, v20, v9, vcc_lo
	v_mul_f16_e32 v4, v26, v16
	v_and_or_b32 v9, 0x1ff, v11, v10
	v_cmp_gt_i32_e32 vcc_lo, 31, v19
	v_lshrrev_b32_e32 v11, 16, v11
	v_and_b32_e32 v10, 7, v20
	v_fmac_f16_e32 v4, v59, v12
	v_lshrrev_b32_e32 v19, 2, v20
	s_wait_alu 0xfffd
	v_cndmask_b32_e32 v7, 0x7c00, v7, vcc_lo
	v_cmp_ne_u32_e32 vcc_lo, 0, v9
	v_cmp_eq_u32_e64 s0, 3, v10
	v_cvt_f32_f16_e32 v4, v4
	s_wait_alu 0xf1ff
	v_cndmask_b32_e64 v7, v7, v21, s1
	s_wait_alu 0xfffd
	v_cndmask_b32_e64 v23, 0, 1, vcc_lo
	v_cmp_lt_i32_e32 vcc_lo, 5, v10
	v_cvt_f64_f32_e32 v[9:10], v4
	v_sub_nc_u32_e32 v4, 0x3f1, v25
	v_and_or_b32 v14, 0x8000, v14, v7
	v_and_or_b32 v23, 0xffe, v24, v23
	s_or_b32 vcc_lo, s0, vcc_lo
	v_mul_f16_e32 v7, v26, v12
	s_wait_alu 0xfffe
	v_add_co_ci_u32_e32 v19, vcc_lo, 0, v19, vcc_lo
	v_or_b32_e32 v20, 0x1000, v23
	v_med3_i32 v4, v4, 0, 13
	v_cmp_ne_u32_e32 vcc_lo, 0, v22
	v_fma_f16 v7, v59, v16, -v7
	v_add_nc_u32_e32 v16, 0xfffffc10, v25
	v_and_b32_e32 v14, 0xffff, v14
	v_lshrrev_b32_e32 v22, v4, v20
	s_wait_alu 0xfffd
	v_cndmask_b32_e64 v21, 0, 1, vcc_lo
	v_cmp_gt_i32_e32 vcc_lo, 31, v18
	s_delay_alu instid0(VALU_DEP_3) | instskip(NEXT) | instid1(VALU_DEP_3)
	v_lshlrev_b32_e32 v4, v4, v22
	v_lshl_or_b32 v21, v21, 9, 0x7c00
	s_wait_alu 0xfffd
	v_cndmask_b32_e32 v19, 0x7c00, v19, vcc_lo
	v_cmp_eq_u32_e32 vcc_lo, 0x40f, v18
	v_and_or_b32 v2, 0x1ff, v3, v2
	v_lshrrev_b32_e32 v18, 16, v8
	v_lshrrev_b32_e32 v8, 8, v3
	v_bfe_u32 v12, v3, 20, 11
	s_wait_alu 0xfffd
	v_cndmask_b32_e32 v15, v19, v21, vcc_lo
	v_cmp_ne_u32_e32 vcc_lo, v4, v20
	v_cvt_f32_f16_e32 v19, v7
	v_lshl_or_b32 v21, v16, 12, v23
	v_sub_nc_u32_e32 v20, 0x3f1, v12
	v_and_or_b32 v15, 0x8000, v18, v15
	s_wait_alu 0xfffd
	v_cndmask_b32_e64 v4, 0, 1, vcc_lo
	v_cmp_ne_u32_e32 vcc_lo, 0, v2
	v_med3_i32 v20, v20, 0, 13
	s_delay_alu instid0(VALU_DEP_3) | instskip(SKIP_4) | instid1(VALU_DEP_3)
	v_or_b32_e32 v4, v22, v4
	s_wait_alu 0xfffd
	v_cndmask_b32_e64 v2, 0, 1, vcc_lo
	v_cmp_gt_i32_e32 vcc_lo, 1, v16
	v_lshl_or_b32 v22, v15, 16, v14
	v_and_or_b32 v2, 0xffe, v8, v2
	v_mul_f64_e32 v[7:8], s[8:9], v[9:10]
	v_cvt_f64_f32_e32 v[9:10], v19
	s_wait_alu 0xfffd
	v_cndmask_b32_e32 v18, v21, v4, vcc_lo
	v_add_co_u32 v4, vcc_lo, v5, s2
	v_or_b32_e32 v19, 0x1000, v2
	s_wait_alu 0xfffd
	v_add_co_ci_u32_e32 v5, vcc_lo, s3, v6, vcc_lo
	v_and_b32_e32 v6, 7, v18
	v_add_co_u32 v14, vcc_lo, v4, s2
	v_lshrrev_b32_e32 v21, v20, v19
	s_wait_alu 0xfffd
	v_add_co_ci_u32_e32 v15, vcc_lo, s3, v5, vcc_lo
	v_cmp_lt_i32_e32 vcc_lo, 5, v6
	v_cmp_eq_u32_e64 s0, 3, v6
	v_lshlrev_b32_e32 v20, v20, v21
	v_lshrrev_b32_e32 v6, 2, v18
	s_delay_alu instid0(VALU_DEP_3) | instskip(NEXT) | instid1(VALU_DEP_2)
	s_or_b32 vcc_lo, s0, vcc_lo
	v_cmp_ne_u32_e64 s1, v20, v19
	s_wait_alu 0xfffe
	s_delay_alu instid0(VALU_DEP_2)
	v_add_co_ci_u32_e32 v20, vcc_lo, 0, v6, vcc_lo
	v_cmp_ne_u32_e32 vcc_lo, 0, v23
	s_wait_alu 0xf1ff
	v_cndmask_b32_e64 v18, 0, 1, s1
	s_wait_alu 0xfffd
	v_cndmask_b32_e64 v23, 0, 1, vcc_lo
	s_delay_alu instid0(VALU_DEP_2) | instskip(NEXT) | instid1(VALU_DEP_2)
	v_or_b32_e32 v6, v21, v18
	v_lshl_or_b32 v23, v23, 9, 0x7c00
	v_add_nc_u32_e32 v19, 0xfffffc10, v12
	v_lshrrev_b32_e32 v12, 16, v13
	v_and_or_b32 v24, 0x1ff, v8, v7
	v_lshrrev_b32_e32 v25, 8, v8
	s_delay_alu instid0(VALU_DEP_4) | instskip(NEXT) | instid1(VALU_DEP_4)
	v_lshl_or_b32 v18, v19, 12, v2
	v_mul_f16_e32 v21, v27, v12
	v_cmp_gt_i32_e32 vcc_lo, 1, v19
	v_bfe_u32 v26, v8, 20, 11
	s_delay_alu instid0(VALU_DEP_3)
	v_fmac_f16_e32 v21, v58, v13
	s_wait_alu 0xfffd
	v_cndmask_b32_e32 v18, v18, v6, vcc_lo
	v_mul_f64_e32 v[6:7], s[8:9], v[9:10]
	v_cmp_gt_i32_e32 vcc_lo, 31, v16
	v_mul_f16_e32 v13, v27, v13
	v_cvt_f32_f16_e32 v9, v21
	v_and_b32_e32 v21, 7, v18
	v_lshrrev_b32_e32 v18, 2, v18
	s_wait_alu 0xfffd
	v_cndmask_b32_e32 v20, 0x7c00, v20, vcc_lo
	v_cmp_ne_u32_e32 vcc_lo, 0, v24
	v_cvt_f64_f32_e32 v[9:10], v9
	v_cmp_eq_u32_e64 s0, 3, v21
	v_fma_f16 v12, v58, v12, -v13
	s_wait_alu 0xfffd
	v_cndmask_b32_e64 v24, 0, 1, vcc_lo
	v_cmp_eq_u32_e32 vcc_lo, 0x40f, v16
	s_delay_alu instid0(VALU_DEP_3)
	v_cvt_f32_f16_e32 v12, v12
	s_wait_alu 0xfffd
	v_cndmask_b32_e32 v16, v20, v23, vcc_lo
	v_cmp_lt_i32_e32 vcc_lo, 5, v21
	v_and_or_b32 v20, 0xffe, v25, v24
	v_sub_nc_u32_e32 v23, 0x3f1, v26
	s_delay_alu instid0(VALU_DEP_4) | instskip(SKIP_1) | instid1(VALU_DEP_3)
	v_and_or_b32 v16, 0x8000, v11, v16
	s_or_b32 vcc_lo, s0, vcc_lo
	v_or_b32_e32 v21, 0x1000, v20
	s_wait_alu 0xfffe
	v_add_co_ci_u32_e32 v13, vcc_lo, 0, v18, vcc_lo
	v_med3_i32 v23, v23, 0, 13
	v_cmp_ne_u32_e32 vcc_lo, 0, v2
	v_cvt_f64_f32_e32 v[11:12], v12
	v_and_b32_e32 v16, 0xffff, v16
	s_delay_alu instid0(VALU_DEP_4) | instskip(SKIP_3) | instid1(VALU_DEP_3)
	v_lshrrev_b32_e32 v18, v23, v21
	s_wait_alu 0xfffd
	v_cndmask_b32_e64 v2, 0, 1, vcc_lo
	v_cmp_gt_i32_e32 vcc_lo, 31, v19
	v_lshlrev_b32_e32 v23, v23, v18
	s_delay_alu instid0(VALU_DEP_3)
	v_lshl_or_b32 v2, v2, 9, 0x7c00
	s_wait_alu 0xfffd
	v_cndmask_b32_e32 v13, 0x7c00, v13, vcc_lo
	v_cmp_eq_u32_e32 vcc_lo, 0x40f, v19
	v_lshrrev_b32_e32 v24, 8, v7
	v_bfe_u32 v25, v7, 20, 11
	s_wait_alu 0xfffd
	v_cndmask_b32_e32 v13, v13, v2, vcc_lo
	v_and_or_b32 v2, 0x1ff, v7, v6
	v_cmp_ne_u32_e32 vcc_lo, v23, v21
	v_lshrrev_b32_e32 v6, 16, v3
	v_add_nc_u32_e32 v21, 0xfffffc10, v26
	v_lshrrev_b32_e32 v7, 16, v7
	s_wait_alu 0xfffd
	v_cndmask_b32_e64 v19, 0, 1, vcc_lo
	v_cmp_ne_u32_e32 vcc_lo, 0, v2
	v_mul_f64_e32 v[2:3], s[8:9], v[9:10]
	ds_load_2addr_b32 v[9:10], v1 offset0:124 offset1:209
	v_and_or_b32 v1, 0x8000, v6, v13
	v_or_b32_e32 v6, v18, v19
	s_wait_alu 0xfffd
	v_cndmask_b32_e64 v23, 0, 1, vcc_lo
	v_lshl_or_b32 v13, v21, 12, v20
	v_sub_nc_u32_e32 v19, 0x3f1, v25
	v_cmp_gt_i32_e32 vcc_lo, 1, v21
	global_store_b32 v[4:5], v17, off
	global_store_b32 v[14:15], v22, off
	v_and_or_b32 v18, 0xffe, v24, v23
	v_lshl_or_b32 v16, v1, 16, v16
	v_med3_i32 v19, v19, 0, 13
	s_wait_alu 0xfffd
	v_cndmask_b32_e32 v6, v13, v6, vcc_lo
	v_add_co_u32 v4, vcc_lo, v14, s2
	v_or_b32_e32 v13, 0x1000, v18
	s_wait_alu 0xfffd
	v_add_co_ci_u32_e32 v5, vcc_lo, s3, v15, vcc_lo
	v_mul_f64_e32 v[11:12], s[8:9], v[11:12]
	v_lshrrev_b32_e32 v24, 16, v56
	v_lshrrev_b32_e32 v17, v19, v13
	s_wait_dscnt 0x0
	v_lshrrev_b32_e32 v14, 16, v9
	global_store_b32 v[4:5], v16, off
	v_lshlrev_b32_e32 v15, v19, v17
	v_and_b32_e32 v1, 7, v6
	v_lshrrev_b32_e32 v6, 2, v6
	s_delay_alu instid0(VALU_DEP_3) | instskip(NEXT) | instid1(VALU_DEP_3)
	v_cmp_ne_u32_e64 s1, v15, v13
	v_cmp_lt_i32_e32 vcc_lo, 5, v1
	v_cmp_eq_u32_e64 s0, 3, v1
	v_add_nc_u32_e32 v15, 0xfffffc10, v25
	v_mul_f16_e32 v1, v24, v14
	s_wait_alu 0xf1ff
	v_cndmask_b32_e64 v13, 0, 1, s1
	s_or_b32 vcc_lo, s0, vcc_lo
	v_and_or_b32 v19, 0x1ff, v3, v2
	s_wait_alu 0xfffe
	v_add_co_ci_u32_e32 v6, vcc_lo, 0, v6, vcc_lo
	v_cmp_ne_u32_e32 vcc_lo, 0, v20
	v_or_b32_e32 v13, v17, v13
	v_lshl_or_b32 v17, v15, 12, v18
	v_fmac_f16_e32 v1, v56, v9
	v_bfe_u32 v22, v3, 20, 11
	s_wait_alu 0xfffd
	v_cndmask_b32_e64 v20, 0, 1, vcc_lo
	v_cmp_gt_i32_e32 vcc_lo, 1, v15
	v_mul_f16_e32 v9, v24, v9
	v_cvt_f32_f16_e32 v1, v1
	s_delay_alu instid0(VALU_DEP_4)
	v_lshl_or_b32 v20, v20, 9, 0x7c00
	s_wait_alu 0xfffd
	v_cndmask_b32_e32 v13, v17, v13, vcc_lo
	v_cmp_ne_u32_e32 vcc_lo, 0, v19
	v_lshrrev_b32_e32 v19, 8, v3
	v_cvt_f64_f32_e32 v[1:2], v1
	v_and_or_b32 v11, 0x1ff, v12, v11
	v_and_b32_e32 v23, 7, v13
	s_wait_alu 0xfffd
	v_cndmask_b32_e64 v17, 0, 1, vcc_lo
	v_cmp_gt_i32_e32 vcc_lo, 31, v21
	v_fma_f16 v9, v56, v14, -v9
	v_lshrrev_b32_e32 v14, 8, v12
	v_cmp_eq_u32_e64 s0, 3, v23
	v_and_or_b32 v17, 0xffe, v19, v17
	s_wait_alu 0xfffd
	v_cndmask_b32_e32 v6, 0x7c00, v6, vcc_lo
	v_sub_nc_u32_e32 v19, 0x3f1, v22
	v_cmp_eq_u32_e32 vcc_lo, 0x40f, v21
	v_lshrrev_b32_e32 v21, 16, v8
	v_lshrrev_b32_e32 v8, 2, v13
	v_add_nc_u32_e32 v22, 0xfffffc10, v22
	v_med3_i32 v19, v19, 0, 13
	s_wait_alu 0xfffd
	v_cndmask_b32_e32 v6, v6, v20, vcc_lo
	v_or_b32_e32 v20, 0x1000, v17
	v_cmp_lt_i32_e32 vcc_lo, 5, v23
	v_lshrrev_b32_e32 v3, 16, v3
	s_delay_alu instid0(VALU_DEP_4) | instskip(NEXT) | instid1(VALU_DEP_4)
	v_and_or_b32 v6, 0x8000, v21, v6
	v_lshrrev_b32_e32 v13, v19, v20
	s_or_b32 vcc_lo, s0, vcc_lo
	s_wait_alu 0xfffe
	v_add_co_ci_u32_e32 v23, vcc_lo, 0, v8, vcc_lo
	s_delay_alu instid0(VALU_DEP_2)
	v_lshlrev_b32_e32 v8, v19, v13
	v_cmp_ne_u32_e32 vcc_lo, 0, v11
	v_bfe_u32 v19, v12, 20, 11
	v_and_b32_e32 v16, 0xffff, v6
	v_lshrrev_b32_e32 v12, 16, v12
	s_wait_alu 0xfffd
	v_cndmask_b32_e64 v11, 0, 1, vcc_lo
	v_cmp_ne_u32_e32 vcc_lo, v8, v20
	v_cvt_f32_f16_e32 v8, v9
	s_delay_alu instid0(VALU_DEP_3)
	v_and_or_b32 v11, 0xffe, v14, v11
	s_wait_alu 0xfffd
	v_cndmask_b32_e64 v20, 0, 1, vcc_lo
	v_cmp_ne_u32_e32 vcc_lo, 0, v18
	v_sub_nc_u32_e32 v14, 0x3f1, v19
	v_mul_f64_e32 v[1:2], s[8:9], v[1:2]
	v_or_b32_e32 v24, 0x1000, v11
	v_or_b32_e32 v13, v13, v20
	s_wait_alu 0xfffd
	v_cndmask_b32_e64 v18, 0, 1, vcc_lo
	v_cmp_gt_i32_e32 vcc_lo, 31, v15
	v_lshl_or_b32 v20, v22, 12, v17
	v_med3_i32 v14, v14, 0, 13
	v_cvt_f64_f32_e32 v[8:9], v8
	v_lshl_or_b32 v18, v18, 9, 0x7c00
	s_wait_alu 0xfffd
	v_cndmask_b32_e32 v23, 0x7c00, v23, vcc_lo
	v_cmp_gt_i32_e32 vcc_lo, 1, v22
	s_wait_alu 0xfffd
	v_cndmask_b32_e32 v13, v20, v13, vcc_lo
	v_lshrrev_b32_e32 v20, v14, v24
	v_cmp_eq_u32_e32 vcc_lo, 0x40f, v15
	s_delay_alu instid0(VALU_DEP_3) | instskip(SKIP_1) | instid1(VALU_DEP_3)
	v_lshrrev_b32_e32 v6, 2, v13
	s_wait_alu 0xfffd
	v_dual_cndmask_b32 v15, v23, v18 :: v_dual_lshlrev_b32 v14, v14, v20
	v_and_b32_e32 v18, 7, v13
	v_lshrrev_b32_e32 v23, 16, v54
	s_delay_alu instid0(VALU_DEP_3) | instskip(NEXT) | instid1(VALU_DEP_4)
	v_cmp_ne_u32_e64 s0, v14, v24
	v_and_or_b32 v15, 0x8000, v7, v15
	s_delay_alu instid0(VALU_DEP_4)
	v_cmp_lt_i32_e32 vcc_lo, 5, v18
	v_add_nc_u32_e32 v14, 0xfffffc10, v19
	v_lshrrev_b32_e32 v19, 16, v10
	s_wait_alu 0xf1ff
	v_cndmask_b32_e64 v7, 0, 1, s0
	v_cmp_eq_u32_e64 s0, 3, v18
	v_lshl_or_b32 v15, v15, 16, v16
	v_lshl_or_b32 v13, v14, 12, v11
	v_lshrrev_b32_e32 v24, 16, v52
	v_or_b32_e32 v7, v20, v7
	s_or_b32 vcc_lo, s0, vcc_lo
	v_and_or_b32 v1, 0x1ff, v2, v1
	s_wait_alu 0xfffe
	v_add_co_ci_u32_e32 v18, vcc_lo, 0, v6, vcc_lo
	v_cmp_ne_u32_e32 vcc_lo, 0, v17
	v_lshrrev_b32_e32 v20, 8, v2
	v_bfe_u32 v21, v2, 20, 11
	v_lshrrev_b32_e32 v2, 16, v2
	s_wait_alu 0xfffd
	v_cndmask_b32_e64 v17, 0, 1, vcc_lo
	v_cmp_gt_i32_e32 vcc_lo, 1, v14
	s_delay_alu instid0(VALU_DEP_2)
	v_lshl_or_b32 v17, v17, 9, 0x7c00
	s_wait_alu 0xfffd
	v_cndmask_b32_e32 v13, v13, v7, vcc_lo
	v_cmp_gt_i32_e32 vcc_lo, 31, v22
	v_mul_f64_e32 v[6:7], s[8:9], v[8:9]
	v_mul_f16_e32 v9, v23, v19
	s_wait_alu 0xfffd
	v_cndmask_b32_e32 v8, 0x7c00, v18, vcc_lo
	v_cmp_ne_u32_e32 vcc_lo, 0, v1
	s_delay_alu instid0(VALU_DEP_3)
	v_fmac_f16_e32 v9, v54, v10
	v_and_b32_e32 v18, 7, v13
	v_lshrrev_b32_e32 v13, 2, v13
	v_mul_f16_e32 v10, v23, v10
	s_wait_alu 0xfffd
	v_cndmask_b32_e64 v1, 0, 1, vcc_lo
	v_cmp_eq_u32_e32 vcc_lo, 0x40f, v22
	v_cmp_eq_u32_e64 s0, 3, v18
	v_fma_f16 v10, v54, v19, -v10
	s_delay_alu instid0(VALU_DEP_4)
	v_and_or_b32 v20, 0xffe, v20, v1
	s_wait_alu 0xfffd
	v_cndmask_b32_e32 v17, v8, v17, vcc_lo
	v_cvt_f32_f16_e32 v8, v9
	v_cmp_lt_i32_e32 vcc_lo, 5, v18
	v_sub_nc_u32_e32 v1, 0x3f1, v21
	v_or_b32_e32 v18, 0x1000, v20
	v_cvt_f32_f16_e32 v10, v10
	v_cvt_f64_f32_e32 v[8:9], v8
	s_or_b32 vcc_lo, s0, vcc_lo
	v_med3_i32 v1, v1, 0, 13
	s_wait_alu 0xfffe
	v_add_co_ci_u32_e32 v13, vcc_lo, 0, v13, vcc_lo
	v_cmp_ne_u32_e32 vcc_lo, 0, v11
	v_and_or_b32 v3, 0x8000, v3, v17
	v_lshrrev_b32_e32 v22, v1, v18
	s_wait_alu 0xfffd
	v_cndmask_b32_e64 v11, 0, 1, vcc_lo
	v_cmp_gt_i32_e32 vcc_lo, 31, v14
	s_delay_alu instid0(VALU_DEP_3) | instskip(NEXT) | instid1(VALU_DEP_3)
	v_lshlrev_b32_e32 v1, v1, v22
	v_lshl_or_b32 v11, v11, 9, 0x7c00
	s_wait_alu 0xfffd
	v_cndmask_b32_e32 v13, 0x7c00, v13, vcc_lo
	v_cmp_eq_u32_e32 vcc_lo, 0x40f, v14
	v_and_or_b32 v6, 0x1ff, v7, v6
	v_add_nc_u32_e32 v14, 0xfffffc10, v21
	v_lshrrev_b32_e32 v17, 8, v7
	s_wait_alu 0xfffd
	v_cndmask_b32_e32 v13, v13, v11, vcc_lo
	v_cmp_ne_u32_e32 vcc_lo, v1, v18
	v_cvt_f64_f32_e32 v[10:11], v10
	v_bfe_u32 v18, v7, 20, 11
	v_lshl_or_b32 v21, v14, 12, v20
	v_and_or_b32 v12, 0x8000, v12, v13
	s_wait_alu 0xfffd
	v_cndmask_b32_e64 v1, 0, 1, vcc_lo
	v_cmp_ne_u32_e32 vcc_lo, 0, v6
	v_and_b32_e32 v13, 0xffff, v3
	s_delay_alu instid0(VALU_DEP_3)
	v_or_b32_e32 v19, v22, v1
	s_wait_alu 0xfffd
	v_cndmask_b32_e64 v6, 0, 1, vcc_lo
	ds_load_2addr_b32 v[0:1], v0 offset0:166 offset1:251
	v_cmp_gt_i32_e32 vcc_lo, 1, v14
	v_lshl_or_b32 v23, v12, 16, v13
	v_mul_f64_e32 v[8:9], s[8:9], v[8:9]
	v_and_or_b32 v17, 0xffe, v17, v6
	v_sub_nc_u32_e32 v6, 0x3f1, v18
	s_wait_alu 0xfffd
	v_cndmask_b32_e32 v19, v21, v19, vcc_lo
	v_add_co_u32 v3, vcc_lo, v4, s2
	v_or_b32_e32 v21, 0x1000, v17
	v_med3_i32 v6, v6, 0, 13
	s_delay_alu instid0(VALU_DEP_4)
	v_and_b32_e32 v16, 7, v19
	s_wait_alu 0xfffd
	v_add_co_ci_u32_e32 v4, vcc_lo, s3, v5, vcc_lo
	v_add_nc_u32_e32 v18, 0xfffffc10, v18
	v_lshrrev_b32_e32 v22, v6, v21
	v_cmp_lt_i32_e32 vcc_lo, 5, v16
	v_cmp_eq_u32_e64 s0, 3, v16
	s_delay_alu instid0(VALU_DEP_3)
	v_lshlrev_b32_e32 v5, v6, v22
	s_wait_dscnt 0x0
	v_lshrrev_b32_e32 v16, 16, v0
	v_lshrrev_b32_e32 v6, 2, v19
	s_or_b32 vcc_lo, s0, vcc_lo
	v_cmp_ne_u32_e64 s1, v5, v21
	s_delay_alu instid0(VALU_DEP_3)
	v_mul_f16_e32 v12, v24, v16
	s_wait_alu 0xfffe
	v_add_co_ci_u32_e32 v13, vcc_lo, 0, v6, vcc_lo
	v_cmp_ne_u32_e32 vcc_lo, 0, v20
	s_wait_alu 0xf1ff
	v_cndmask_b32_e64 v5, 0, 1, s1
	v_fmac_f16_e32 v12, v52, v0
	v_lshl_or_b32 v21, v18, 12, v17
	v_mul_f16_e32 v0, v24, v0
	s_wait_alu 0xfffd
	v_cndmask_b32_e64 v20, 0, 1, vcc_lo
	v_or_b32_e32 v19, v22, v5
	v_mul_f64_e32 v[5:6], s[8:9], v[10:11]
	v_cmp_gt_i32_e32 vcc_lo, 1, v18
	v_cvt_f32_f16_e32 v10, v12
	v_lshl_or_b32 v20, v20, 9, 0x7c00
	v_fma_f16 v0, v52, v16, -v0
	v_and_or_b32 v8, 0x1ff, v9, v8
	s_wait_alu 0xfffd
	v_cndmask_b32_e32 v19, v21, v19, vcc_lo
	v_cmp_gt_i32_e32 vcc_lo, 31, v14
	v_cvt_f64_f32_e32 v[10:11], v10
	v_cvt_f32_f16_e32 v0, v0
	v_cmp_ne_u32_e64 s0, 0, v8
	s_wait_alu 0xfffd
	v_dual_cndmask_b32 v21, 0x7c00, v13 :: v_dual_and_b32 v22, 7, v19
	v_add_co_u32 v12, vcc_lo, v3, s2
	s_wait_alu 0xfffd
	v_add_co_ci_u32_e32 v13, vcc_lo, s3, v4, vcc_lo
	v_cmp_eq_u32_e32 vcc_lo, 0x40f, v14
	s_wait_alu 0xf1ff
	v_cndmask_b32_e64 v8, 0, 1, s0
	v_cmp_eq_u32_e64 s0, 3, v22
	v_lshrrev_b32_e32 v19, 2, v19
	global_store_b32 v[3:4], v15, off
	global_store_b32 v[12:13], v23, off
	s_wait_alu 0xfffd
	v_cndmask_b32_e32 v14, v21, v20, vcc_lo
	v_cmp_lt_i32_e32 vcc_lo, 5, v22
	v_lshrrev_b32_e32 v20, 8, v9
	v_bfe_u32 v21, v9, 20, 11
	v_lshrrev_b32_e32 v23, 16, v49
	v_and_or_b32 v2, 0x8000, v2, v14
	s_or_b32 vcc_lo, s0, vcc_lo
	v_and_or_b32 v20, 0xffe, v20, v8
	s_wait_alu 0xfffe
	v_add_co_ci_u32_e32 v19, vcc_lo, 0, v19, vcc_lo
	v_cmp_ne_u32_e32 vcc_lo, 0, v17
	v_sub_nc_u32_e32 v8, 0x3f1, v21
	v_or_b32_e32 v22, 0x1000, v20
	v_add_nc_u32_e32 v16, 0xfffffc10, v21
	v_and_b32_e32 v2, 0xffff, v2
	s_wait_alu 0xfffd
	v_cndmask_b32_e64 v17, 0, 1, vcc_lo
	v_cmp_gt_i32_e32 vcc_lo, 31, v18
	v_med3_i32 v8, v8, 0, 13
	v_and_or_b32 v5, 0x1ff, v6, v5
	v_lshrrev_b32_e32 v24, 8, v6
	v_lshl_or_b32 v17, v17, 9, 0x7c00
	s_wait_alu 0xfffd
	v_cndmask_b32_e32 v19, 0x7c00, v19, vcc_lo
	v_cmp_eq_u32_e32 vcc_lo, 0x40f, v18
	v_lshrrev_b32_e32 v14, v8, v22
	v_lshrrev_b32_e32 v18, 16, v7
	v_bfe_u32 v25, v6, 20, 11
	v_lshl_or_b32 v21, v16, 12, v20
	s_wait_alu 0xfffd
	v_cndmask_b32_e32 v17, v19, v17, vcc_lo
	v_cmp_ne_u32_e32 vcc_lo, 0, v5
	v_lshlrev_b32_e32 v19, v8, v14
	v_mul_f64_e32 v[7:8], s[8:9], v[10:11]
	v_cmp_eq_u32_e64 s1, 0x40f, v16
	v_lshrrev_b32_e32 v9, 16, v9
	s_wait_alu 0xfffd
	v_cndmask_b32_e64 v5, 0, 1, vcc_lo
	v_cmp_ne_u32_e32 vcc_lo, v19, v22
	v_lshrrev_b32_e32 v6, 16, v6
	s_delay_alu instid0(VALU_DEP_3)
	v_and_or_b32 v19, 0xffe, v24, v5
	v_sub_nc_u32_e32 v5, 0x3f1, v25
	s_wait_alu 0xfffd
	v_cndmask_b32_e64 v10, 0, 1, vcc_lo
	v_cmp_gt_i32_e32 vcc_lo, 1, v16
	v_or_b32_e32 v22, 0x1000, v19
	v_med3_i32 v5, v5, 0, 13
	s_delay_alu instid0(VALU_DEP_4) | instskip(SKIP_2) | instid1(VALU_DEP_4)
	v_or_b32_e32 v14, v14, v10
	v_cvt_f64_f32_e32 v[10:11], v0
	v_and_or_b32 v0, 0x8000, v18, v17
	v_lshrrev_b32_e32 v17, v5, v22
	s_wait_alu 0xfffd
	v_cndmask_b32_e32 v14, v21, v14, vcc_lo
	s_delay_alu instid0(VALU_DEP_3) | instskip(SKIP_2) | instid1(VALU_DEP_4)
	v_lshl_or_b32 v15, v0, 16, v2
	v_add_co_u32 v2, vcc_lo, v12, s2
	v_lshlrev_b32_e32 v4, v5, v17
	v_and_b32_e32 v0, 7, v14
	s_wait_alu 0xfffd
	v_add_co_ci_u32_e32 v3, vcc_lo, s3, v13, vcc_lo
	v_lshrrev_b32_e32 v12, 16, v1
	v_cmp_ne_u32_e64 s0, v4, v22
	v_cmp_lt_i32_e32 vcc_lo, 5, v0
	v_add_nc_u32_e32 v13, 0xfffffc10, v25
	s_delay_alu instid0(VALU_DEP_4)
	v_mul_f16_e32 v5, v23, v12
	s_wait_alu 0xf1ff
	v_cndmask_b32_e64 v4, 0, 1, s0
	v_cmp_eq_u32_e64 s0, 3, v0
	v_lshrrev_b32_e32 v0, 2, v14
	v_lshl_or_b32 v14, v13, 12, v19
	v_and_or_b32 v7, 0x1ff, v8, v7
	v_or_b32_e32 v4, v17, v4
	s_or_b32 vcc_lo, s0, vcc_lo
	v_fmac_f16_e32 v5, v49, v1
	s_wait_alu 0xfffe
	v_add_co_ci_u32_e32 v0, vcc_lo, 0, v0, vcc_lo
	v_cmp_gt_i32_e32 vcc_lo, 1, v13
	v_lshrrev_b32_e32 v17, 8, v8
	v_cvt_f32_f16_e32 v5, v5
	v_bfe_u32 v18, v8, 20, 11
	v_lshrrev_b32_e32 v8, 16, v8
	s_wait_alu 0xfffd
	v_cndmask_b32_e32 v14, v14, v4, vcc_lo
	v_cmp_ne_u32_e32 vcc_lo, 0, v7
	v_cvt_f64_f32_e32 v[4:5], v5
	v_mul_f64_e32 v[10:11], s[8:9], v[10:11]
	s_delay_alu instid0(VALU_DEP_4)
	v_and_b32_e32 v21, 7, v14
	s_wait_alu 0xfffd
	v_cndmask_b32_e64 v7, 0, 1, vcc_lo
	v_cmp_ne_u32_e32 vcc_lo, 0, v20
	v_lshrrev_b32_e32 v14, 2, v14
	v_cmp_eq_u32_e64 s0, 3, v21
	s_delay_alu instid0(VALU_DEP_4)
	v_and_or_b32 v7, 0xffe, v17, v7
	s_wait_alu 0xfffd
	v_cndmask_b32_e64 v20, 0, 1, vcc_lo
	v_cmp_gt_i32_e32 vcc_lo, 31, v16
	v_sub_nc_u32_e32 v17, 0x3f1, v18
	v_or_b32_e32 v22, 0x1000, v7
	s_delay_alu instid0(VALU_DEP_4) | instskip(SKIP_4) | instid1(VALU_DEP_3)
	v_lshl_or_b32 v20, v20, 9, 0x7c00
	s_wait_alu 0xfffd
	v_cndmask_b32_e32 v0, 0x7c00, v0, vcc_lo
	v_cmp_lt_i32_e32 vcc_lo, 5, v21
	v_med3_i32 v17, v17, 0, 13
	v_cndmask_b32_e64 v0, v0, v20, s1
	s_or_b32 vcc_lo, s0, vcc_lo
	s_delay_alu instid0(VALU_DEP_2)
	v_lshrrev_b32_e32 v16, v17, v22
	s_wait_alu 0xfffe
	v_add_co_ci_u32_e32 v14, vcc_lo, 0, v14, vcc_lo
	v_cmp_ne_u32_e32 vcc_lo, 0, v19
	v_and_or_b32 v9, 0x8000, v9, v0
	v_lshlrev_b32_e32 v17, v17, v16
	s_wait_alu 0xfffd
	v_cndmask_b32_e64 v19, 0, 1, vcc_lo
	v_cmp_gt_i32_e32 vcc_lo, 31, v13
	v_and_b32_e32 v9, 0xffff, v9
	s_delay_alu instid0(VALU_DEP_3)
	v_lshl_or_b32 v19, v19, 9, 0x7c00
	s_wait_alu 0xfffd
	v_cndmask_b32_e32 v14, 0x7c00, v14, vcc_lo
	v_cmp_ne_u32_e32 vcc_lo, v17, v22
	ds_load_b32 v17, v47 offset:5440
	s_wait_alu 0xfffd
	v_cndmask_b32_e64 v0, 0, 1, vcc_lo
	v_cmp_eq_u32_e32 vcc_lo, 0x40f, v13
	s_delay_alu instid0(VALU_DEP_2)
	v_or_b32_e32 v16, v16, v0
	s_wait_alu 0xfffd
	v_dual_cndmask_b32 v13, v14, v19 :: v_dual_add_nc_u32 v14, 0xfffffc10, v18
	v_mul_f16_e32 v18, v23, v1
	v_mul_f64_e32 v[0:1], s[8:9], v[4:5]
	v_and_or_b32 v5, 0x1ff, v11, v10
	s_delay_alu instid0(VALU_DEP_4)
	v_and_or_b32 v6, 0x8000, v6, v13
	v_lshl_or_b32 v4, v14, 12, v7
	v_fma_f16 v10, v49, v12, -v18
	v_cmp_gt_i32_e32 vcc_lo, 1, v14
	v_bfe_u32 v18, v11, 20, 11
	s_wait_dscnt 0x0
	v_lshrrev_b32_e32 v19, 16, v17
	v_lshrrev_b32_e32 v23, 16, v48
	v_lshl_or_b32 v22, v6, 16, v9
	s_wait_alu 0xfffd
	v_cndmask_b32_e32 v12, v4, v16, vcc_lo
	v_cmp_ne_u32_e32 vcc_lo, 0, v5
	v_cvt_f32_f16_e32 v4, v10
	v_lshrrev_b32_e32 v10, 8, v11
	v_mul_f16_e32 v21, v23, v19
	v_and_b32_e32 v13, 7, v12
	s_wait_alu 0xfffd
	v_cndmask_b32_e64 v16, 0, 1, vcc_lo
	v_cvt_f64_f32_e32 v[4:5], v4
	v_lshrrev_b32_e32 v6, 2, v12
	v_fmac_f16_e32 v21, v48, v17
	v_cmp_lt_i32_e32 vcc_lo, 5, v13
	v_and_or_b32 v16, 0xffe, v10, v16
	v_sub_nc_u32_e32 v10, 0x3f1, v18
	v_cmp_eq_u32_e64 s0, 3, v13
	v_cvt_f32_f16_e32 v12, v21
	v_add_nc_u32_e32 v18, 0xfffffc10, v18
	v_or_b32_e32 v20, 0x1000, v16
	v_med3_i32 v10, v10, 0, 13
	s_or_b32 vcc_lo, s0, vcc_lo
	v_lshrrev_b32_e32 v11, 16, v11
	s_wait_alu 0xfffe
	v_add_co_ci_u32_e32 v6, vcc_lo, 0, v6, vcc_lo
	v_lshrrev_b32_e32 v9, v10, v20
	v_cmp_ne_u32_e32 vcc_lo, 0, v7
	s_delay_alu instid0(VALU_DEP_2) | instskip(SKIP_4) | instid1(VALU_DEP_3)
	v_lshlrev_b32_e32 v10, v10, v9
	s_wait_alu 0xfffd
	v_cndmask_b32_e64 v7, 0, 1, vcc_lo
	v_cmp_gt_i32_e32 vcc_lo, 31, v14
	v_and_or_b32 v0, 0x1ff, v1, v0
	v_lshl_or_b32 v21, v7, 9, 0x7c00
	s_wait_alu 0xfffd
	v_cndmask_b32_e32 v13, 0x7c00, v6, vcc_lo
	v_cvt_f64_f32_e32 v[6:7], v12
	v_cmp_ne_u32_e32 vcc_lo, v10, v20
	v_mul_f16_e32 v12, v23, v17
	v_lshrrev_b32_e32 v17, 8, v1
	v_bfe_u32 v20, v1, 20, 11
	v_lshrrev_b32_e32 v1, 16, v1
	s_wait_alu 0xfffd
	v_cndmask_b32_e64 v10, 0, 1, vcc_lo
	v_cmp_ne_u32_e32 vcc_lo, 0, v0
	v_mul_f64_e32 v[4:5], s[8:9], v[4:5]
	s_delay_alu instid0(VALU_DEP_3)
	v_or_b32_e32 v9, v9, v10
	s_wait_alu 0xfffd
	v_cndmask_b32_e64 v0, 0, 1, vcc_lo
	v_fma_f16 v10, v48, v19, -v12
	v_lshl_or_b32 v12, v18, 12, v16
	v_cmp_gt_i32_e32 vcc_lo, 1, v18
	s_delay_alu instid0(VALU_DEP_4)
	v_and_or_b32 v0, 0xffe, v17, v0
	v_sub_nc_u32_e32 v17, 0x3f1, v20
	v_cvt_f32_f16_e32 v10, v10
	s_wait_alu 0xfffd
	v_cndmask_b32_e32 v19, v12, v9, vcc_lo
	v_cmp_eq_u32_e32 vcc_lo, 0x40f, v14
	v_or_b32_e32 v23, 0x1000, v0
	v_med3_i32 v17, v17, 0, 13
	v_cvt_f64_f32_e32 v[9:10], v10
	s_wait_alu 0xfffd
	v_dual_cndmask_b32 v14, v13, v21 :: v_dual_and_b32 v21, 7, v19
	v_add_co_u32 v12, vcc_lo, v2, s2
	v_lshrrev_b32_e32 v24, v17, v23
	s_wait_alu 0xfffd
	v_add_co_ci_u32_e32 v13, vcc_lo, s3, v3, vcc_lo
	v_cmp_lt_i32_e32 vcc_lo, 5, v21
	v_cmp_eq_u32_e64 s0, 3, v21
	v_and_or_b32 v14, 0x8000, v8, v14
	v_lshrrev_b32_e32 v8, 2, v19
	v_lshlrev_b32_e32 v17, v17, v24
	v_mul_f64_e32 v[6:7], s[8:9], v[6:7]
	s_or_b32 vcc_lo, s0, vcc_lo
	v_add_nc_u32_e32 v19, 0xfffffc10, v20
	s_wait_alu 0xfffe
	v_add_co_ci_u32_e32 v8, vcc_lo, 0, v8, vcc_lo
	v_cmp_ne_u32_e64 s1, v17, v23
	v_cmp_ne_u32_e32 vcc_lo, 0, v16
	v_lshl_or_b32 v20, v19, 12, v0
	v_and_b32_e32 v14, 0xffff, v14
	s_wait_alu 0xf1ff
	v_cndmask_b32_e64 v17, 0, 1, s1
	s_wait_alu 0xfffd
	v_cndmask_b32_e64 v16, 0, 1, vcc_lo
	v_cmp_gt_i32_e32 vcc_lo, 31, v18
	v_and_or_b32 v4, 0x1ff, v5, v4
	v_or_b32_e32 v17, v24, v17
	s_delay_alu instid0(VALU_DEP_4)
	v_lshl_or_b32 v16, v16, 9, 0x7c00
	s_wait_alu 0xfffd
	v_cndmask_b32_e32 v8, 0x7c00, v8, vcc_lo
	v_cmp_gt_i32_e32 vcc_lo, 1, v19
	s_wait_alu 0xfffd
	v_cndmask_b32_e32 v17, v20, v17, vcc_lo
	v_cmp_eq_u32_e32 vcc_lo, 0x40f, v18
	v_lshrrev_b32_e32 v20, 8, v5
	s_delay_alu instid0(VALU_DEP_3)
	v_and_b32_e32 v18, 7, v17
	s_wait_alu 0xfffd
	v_cndmask_b32_e32 v16, v8, v16, vcc_lo
	v_cmp_ne_u32_e32 vcc_lo, 0, v4
	v_mul_f64_e32 v[8:9], s[8:9], v[9:10]
	v_bfe_u32 v10, v5, 20, 11
	v_cmp_eq_u32_e64 s0, 3, v18
	v_and_or_b32 v11, 0x8000, v11, v16
	s_wait_alu 0xfffd
	v_cndmask_b32_e64 v4, 0, 1, vcc_lo
	v_cmp_lt_i32_e32 vcc_lo, 5, v18
	v_sub_nc_u32_e32 v16, 0x3f1, v10
	v_and_or_b32 v6, 0x1ff, v7, v6
	v_lshl_or_b32 v11, v11, 16, v14
	v_lshrrev_b32_e32 v14, 2, v17
	v_and_or_b32 v4, 0xffe, v20, v4
	s_or_b32 vcc_lo, s0, vcc_lo
	v_med3_i32 v16, v16, 0, 13
	v_lshrrev_b32_e32 v20, 8, v7
	s_wait_alu 0xfffe
	v_add_co_ci_u32_e32 v14, vcc_lo, 0, v14, vcc_lo
	v_or_b32_e32 v17, 0x1000, v4
	v_cmp_ne_u32_e32 vcc_lo, 0, v0
	v_bfe_u32 v21, v7, 20, 11
	v_add_nc_u32_e32 v10, 0xfffffc10, v10
	v_lshrrev_b32_e32 v5, 16, v5
	v_lshrrev_b32_e32 v18, v16, v17
	s_wait_alu 0xfffd
	v_cndmask_b32_e64 v0, 0, 1, vcc_lo
	v_cmp_gt_i32_e32 vcc_lo, 31, v19
	v_lshrrev_b32_e32 v7, 16, v7
	v_lshlrev_b32_e32 v16, v16, v18
	s_delay_alu instid0(VALU_DEP_4)
	v_lshl_or_b32 v0, v0, 9, 0x7c00
	s_wait_alu 0xfffd
	v_cndmask_b32_e32 v14, 0x7c00, v14, vcc_lo
	v_cmp_ne_u32_e32 vcc_lo, 0, v6
	s_wait_alu 0xfffd
	v_cndmask_b32_e64 v6, 0, 1, vcc_lo
	v_cmp_ne_u32_e32 vcc_lo, v16, v17
	v_sub_nc_u32_e32 v17, 0x3f1, v21
	v_and_or_b32 v8, 0x1ff, v9, v8
	s_delay_alu instid0(VALU_DEP_4)
	v_and_or_b32 v6, 0xffe, v20, v6
	s_wait_alu 0xfffd
	v_cndmask_b32_e64 v16, 0, 1, vcc_lo
	v_cmp_eq_u32_e32 vcc_lo, 0x40f, v19
	v_med3_i32 v17, v17, 0, 13
	v_lshrrev_b32_e32 v19, 8, v9
	v_bfe_u32 v20, v9, 20, 11
	s_wait_alu 0xfffd
	v_cndmask_b32_e32 v0, v14, v0, vcc_lo
	v_or_b32_e32 v14, v18, v16
	v_lshl_or_b32 v16, v10, 12, v4
	v_or_b32_e32 v18, 0x1000, v6
	v_cmp_gt_i32_e32 vcc_lo, 1, v10
	v_and_or_b32 v0, 0x8000, v1, v0
	s_wait_alu 0xfffd
	v_cndmask_b32_e32 v14, v16, v14, vcc_lo
	v_lshrrev_b32_e32 v16, v17, v18
	v_cmp_ne_u32_e32 vcc_lo, 0, v8
	s_delay_alu instid0(VALU_DEP_2) | instskip(SKIP_2) | instid1(VALU_DEP_2)
	v_lshlrev_b32_e32 v17, v17, v16
	s_wait_alu 0xfffd
	v_cndmask_b32_e64 v8, 0, 1, vcc_lo
	v_cmp_ne_u32_e64 s0, v17, v18
	s_delay_alu instid0(VALU_DEP_2)
	v_and_or_b32 v1, 0xffe, v19, v8
	v_add_nc_u32_e32 v19, 0xfffffc10, v21
	v_sub_nc_u32_e32 v8, 0x3f1, v20
	s_wait_alu 0xf1ff
	v_cndmask_b32_e64 v17, 0, 1, s0
	v_or_b32_e32 v18, 0x1000, v1
	v_lshl_or_b32 v21, v19, 12, v6
	v_med3_i32 v8, v8, 0, 13
	s_delay_alu instid0(VALU_DEP_4) | instskip(SKIP_2) | instid1(VALU_DEP_4)
	v_or_b32_e32 v16, v16, v17
	v_and_b32_e32 v23, 7, v14
	v_lshrrev_b32_e32 v14, 2, v14
	v_lshrrev_b32_e32 v17, v8, v18
	s_delay_alu instid0(VALU_DEP_3) | instskip(SKIP_1) | instid1(VALU_DEP_3)
	v_cmp_lt_i32_e32 vcc_lo, 5, v23
	v_cmp_eq_u32_e64 s0, 3, v23
	v_lshlrev_b32_e32 v8, v8, v17
	s_delay_alu instid0(VALU_DEP_2)
	s_or_b32 vcc_lo, s0, vcc_lo
	s_wait_alu 0xfffe
	v_add_co_ci_u32_e32 v14, vcc_lo, 0, v14, vcc_lo
	v_cmp_gt_i32_e32 vcc_lo, 1, v19
	s_wait_alu 0xfffd
	v_cndmask_b32_e32 v16, v21, v16, vcc_lo
	v_cmp_ne_u32_e32 vcc_lo, 0, v4
	s_wait_alu 0xfffd
	v_cndmask_b32_e64 v4, 0, 1, vcc_lo
	v_cmp_ne_u32_e32 vcc_lo, v8, v18
	v_add_nc_u32_e32 v18, 0xfffffc10, v20
	v_and_b32_e32 v20, 7, v16
	s_delay_alu instid0(VALU_DEP_4)
	v_lshl_or_b32 v4, v4, 9, 0x7c00
	s_wait_alu 0xfffd
	v_cndmask_b32_e64 v8, 0, 1, vcc_lo
	v_cmp_gt_i32_e32 vcc_lo, 31, v10
	v_cmp_gt_i32_e64 s1, 1, v18
	v_cmp_eq_u32_e64 s0, 3, v20
	s_delay_alu instid0(VALU_DEP_4)
	v_or_b32_e32 v8, v17, v8
	v_lshl_or_b32 v17, v18, 12, v1
	s_wait_alu 0xfffd
	v_cndmask_b32_e32 v14, 0x7c00, v14, vcc_lo
	v_cmp_lt_i32_e32 vcc_lo, 5, v20
	s_wait_alu 0xf1ff
	v_cndmask_b32_e64 v8, v17, v8, s1
	v_cmp_eq_u32_e64 s1, 0x40f, v10
	v_lshrrev_b32_e32 v10, 2, v16
	s_or_b32 vcc_lo, s0, vcc_lo
	s_delay_alu instid0(VALU_DEP_2) | instskip(SKIP_1) | instid1(VALU_DEP_2)
	v_cndmask_b32_e64 v4, v14, v4, s1
	s_wait_alu 0xfffe
	v_add_co_ci_u32_e32 v10, vcc_lo, 0, v10, vcc_lo
	v_and_b32_e32 v14, 7, v8
	v_cmp_ne_u32_e32 vcc_lo, 0, v6
	v_lshrrev_b32_e32 v8, 2, v8
	v_cmp_gt_i32_e64 s1, 31, v19
	v_and_or_b32 v4, 0x8000, v5, v4
	v_cmp_eq_u32_e64 s0, 3, v14
	s_wait_alu 0xfffd
	v_cndmask_b32_e64 v6, 0, 1, vcc_lo
	v_cmp_lt_i32_e32 vcc_lo, 5, v14
	s_wait_alu 0xf1ff
	v_cndmask_b32_e64 v10, 0x7c00, v10, s1
	v_and_b32_e32 v5, 0xffff, v0
	v_lshl_or_b32 v6, v6, 9, 0x7c00
	s_or_b32 vcc_lo, s0, vcc_lo
	s_wait_alu 0xfffe
	v_add_co_ci_u32_e32 v8, vcc_lo, 0, v8, vcc_lo
	v_cmp_ne_u32_e32 vcc_lo, 0, v1
	s_wait_alu 0xfffd
	v_cndmask_b32_e64 v1, 0, 1, vcc_lo
	v_cmp_eq_u32_e32 vcc_lo, 0x40f, v19
	s_delay_alu instid0(VALU_DEP_2) | instskip(SKIP_3) | instid1(VALU_DEP_2)
	v_lshl_or_b32 v1, v1, 9, 0x7c00
	s_wait_alu 0xfffd
	v_cndmask_b32_e32 v6, v10, v6, vcc_lo
	v_cmp_gt_i32_e32 vcc_lo, 31, v18
	v_and_or_b32 v6, 0x8000, v7, v6
	s_wait_alu 0xfffd
	v_cndmask_b32_e32 v8, 0x7c00, v8, vcc_lo
	v_cmp_eq_u32_e32 vcc_lo, 0x40f, v18
	s_wait_alu 0xfffd
	s_delay_alu instid0(VALU_DEP_2)
	v_dual_cndmask_b32 v7, v8, v1 :: v_dual_and_b32 v6, 0xffff, v6
	v_lshrrev_b32_e32 v8, 16, v9
	v_add_co_u32 v0, vcc_lo, v12, s2
	s_wait_alu 0xfffd
	v_add_co_ci_u32_e32 v1, vcc_lo, s3, v13, vcc_lo
	v_lshl_or_b32 v9, v4, 16, v5
	v_and_or_b32 v7, 0x8000, v8, v7
	v_add_co_u32 v4, vcc_lo, v0, s2
	s_wait_alu 0xfffd
	v_add_co_ci_u32_e32 v5, vcc_lo, s3, v1, vcc_lo
	s_delay_alu instid0(VALU_DEP_3) | instskip(NEXT) | instid1(VALU_DEP_3)
	v_lshl_or_b32 v8, v7, 16, v6
	v_add_co_u32 v6, vcc_lo, v4, s2
	s_wait_alu 0xfffd
	s_delay_alu instid0(VALU_DEP_3)
	v_add_co_ci_u32_e32 v7, vcc_lo, s3, v5, vcc_lo
	global_store_b32 v[2:3], v15, off
	global_store_b32 v[12:13], v22, off
	;; [unrolled: 1-line block ×5, first 2 shown]
.LBB0_10:
	s_nop 0
	s_sendmsg sendmsg(MSG_DEALLOC_VGPRS)
	s_endpgm
	.section	.rodata,"a",@progbits
	.p2align	6, 0x0
	.amdhsa_kernel bluestein_single_fwd_len1445_dim1_half_op_CI_CI
		.amdhsa_group_segment_fixed_size 5780
		.amdhsa_private_segment_fixed_size 8
		.amdhsa_kernarg_size 104
		.amdhsa_user_sgpr_count 2
		.amdhsa_user_sgpr_dispatch_ptr 0
		.amdhsa_user_sgpr_queue_ptr 0
		.amdhsa_user_sgpr_kernarg_segment_ptr 1
		.amdhsa_user_sgpr_dispatch_id 0
		.amdhsa_user_sgpr_private_segment_size 0
		.amdhsa_wavefront_size32 1
		.amdhsa_uses_dynamic_stack 0
		.amdhsa_enable_private_segment 1
		.amdhsa_system_sgpr_workgroup_id_x 1
		.amdhsa_system_sgpr_workgroup_id_y 0
		.amdhsa_system_sgpr_workgroup_id_z 0
		.amdhsa_system_sgpr_workgroup_info 0
		.amdhsa_system_vgpr_workitem_id 0
		.amdhsa_next_free_vgpr 256
		.amdhsa_next_free_sgpr 20
		.amdhsa_reserve_vcc 1
		.amdhsa_float_round_mode_32 0
		.amdhsa_float_round_mode_16_64 0
		.amdhsa_float_denorm_mode_32 3
		.amdhsa_float_denorm_mode_16_64 3
		.amdhsa_fp16_overflow 0
		.amdhsa_workgroup_processor_mode 1
		.amdhsa_memory_ordered 1
		.amdhsa_forward_progress 0
		.amdhsa_round_robin_scheduling 0
		.amdhsa_exception_fp_ieee_invalid_op 0
		.amdhsa_exception_fp_denorm_src 0
		.amdhsa_exception_fp_ieee_div_zero 0
		.amdhsa_exception_fp_ieee_overflow 0
		.amdhsa_exception_fp_ieee_underflow 0
		.amdhsa_exception_fp_ieee_inexact 0
		.amdhsa_exception_int_div_zero 0
	.end_amdhsa_kernel
	.text
.Lfunc_end0:
	.size	bluestein_single_fwd_len1445_dim1_half_op_CI_CI, .Lfunc_end0-bluestein_single_fwd_len1445_dim1_half_op_CI_CI
                                        ; -- End function
	.section	.AMDGPU.csdata,"",@progbits
; Kernel info:
; codeLenInByte = 45952
; NumSgprs: 22
; NumVgprs: 256
; ScratchSize: 8
; MemoryBound: 0
; FloatMode: 240
; IeeeMode: 1
; LDSByteSize: 5780 bytes/workgroup (compile time only)
; SGPRBlocks: 2
; VGPRBlocks: 31
; NumSGPRsForWavesPerEU: 22
; NumVGPRsForWavesPerEU: 256
; Occupancy: 5
; WaveLimiterHint : 1
; COMPUTE_PGM_RSRC2:SCRATCH_EN: 1
; COMPUTE_PGM_RSRC2:USER_SGPR: 2
; COMPUTE_PGM_RSRC2:TRAP_HANDLER: 0
; COMPUTE_PGM_RSRC2:TGID_X_EN: 1
; COMPUTE_PGM_RSRC2:TGID_Y_EN: 0
; COMPUTE_PGM_RSRC2:TGID_Z_EN: 0
; COMPUTE_PGM_RSRC2:TIDIG_COMP_CNT: 0
	.text
	.p2alignl 7, 3214868480
	.fill 96, 4, 3214868480
	.type	__hip_cuid_21918cde23763ed9,@object ; @__hip_cuid_21918cde23763ed9
	.section	.bss,"aw",@nobits
	.globl	__hip_cuid_21918cde23763ed9
__hip_cuid_21918cde23763ed9:
	.byte	0                               ; 0x0
	.size	__hip_cuid_21918cde23763ed9, 1

	.ident	"AMD clang version 19.0.0git (https://github.com/RadeonOpenCompute/llvm-project roc-6.4.0 25133 c7fe45cf4b819c5991fe208aaa96edf142730f1d)"
	.section	".note.GNU-stack","",@progbits
	.addrsig
	.addrsig_sym __hip_cuid_21918cde23763ed9
	.amdgpu_metadata
---
amdhsa.kernels:
  - .args:
      - .actual_access:  read_only
        .address_space:  global
        .offset:         0
        .size:           8
        .value_kind:     global_buffer
      - .actual_access:  read_only
        .address_space:  global
        .offset:         8
        .size:           8
        .value_kind:     global_buffer
      - .actual_access:  read_only
        .address_space:  global
        .offset:         16
        .size:           8
        .value_kind:     global_buffer
      - .actual_access:  read_only
        .address_space:  global
        .offset:         24
        .size:           8
        .value_kind:     global_buffer
      - .actual_access:  read_only
        .address_space:  global
        .offset:         32
        .size:           8
        .value_kind:     global_buffer
      - .offset:         40
        .size:           8
        .value_kind:     by_value
      - .address_space:  global
        .offset:         48
        .size:           8
        .value_kind:     global_buffer
      - .address_space:  global
        .offset:         56
        .size:           8
        .value_kind:     global_buffer
      - .address_space:  global
        .offset:         64
        .size:           8
        .value_kind:     global_buffer
      - .address_space:  global
        .offset:         72
        .size:           8
        .value_kind:     global_buffer
      - .offset:         80
        .size:           4
        .value_kind:     by_value
      - .address_space:  global
        .offset:         88
        .size:           8
        .value_kind:     global_buffer
      - .address_space:  global
        .offset:         96
        .size:           8
        .value_kind:     global_buffer
    .group_segment_fixed_size: 5780
    .kernarg_segment_align: 8
    .kernarg_segment_size: 104
    .language:       OpenCL C
    .language_version:
      - 2
      - 0
    .max_flat_workgroup_size: 85
    .name:           bluestein_single_fwd_len1445_dim1_half_op_CI_CI
    .private_segment_fixed_size: 8
    .sgpr_count:     22
    .sgpr_spill_count: 0
    .symbol:         bluestein_single_fwd_len1445_dim1_half_op_CI_CI.kd
    .uniform_work_group_size: 1
    .uses_dynamic_stack: false
    .vgpr_count:     256
    .vgpr_spill_count: 1
    .wavefront_size: 32
    .workgroup_processor_mode: 1
amdhsa.target:   amdgcn-amd-amdhsa--gfx1201
amdhsa.version:
  - 1
  - 2
...

	.end_amdgpu_metadata
